;; amdgpu-corpus repo=ROCm/rocFFT kind=compiled arch=gfx950 opt=O3
	.text
	.amdgcn_target "amdgcn-amd-amdhsa--gfx950"
	.amdhsa_code_object_version 6
	.protected	fft_rtc_back_len480_factors_10_8_6_wgs_64_tpt_16_halfLds_dp_op_CI_CI_unitstride_sbrr_R2C_dirReg ; -- Begin function fft_rtc_back_len480_factors_10_8_6_wgs_64_tpt_16_halfLds_dp_op_CI_CI_unitstride_sbrr_R2C_dirReg
	.globl	fft_rtc_back_len480_factors_10_8_6_wgs_64_tpt_16_halfLds_dp_op_CI_CI_unitstride_sbrr_R2C_dirReg
	.p2align	8
	.type	fft_rtc_back_len480_factors_10_8_6_wgs_64_tpt_16_halfLds_dp_op_CI_CI_unitstride_sbrr_R2C_dirReg,@function
fft_rtc_back_len480_factors_10_8_6_wgs_64_tpt_16_halfLds_dp_op_CI_CI_unitstride_sbrr_R2C_dirReg: ; @fft_rtc_back_len480_factors_10_8_6_wgs_64_tpt_16_halfLds_dp_op_CI_CI_unitstride_sbrr_R2C_dirReg
; %bb.0:
	s_load_dwordx4 s[4:7], s[0:1], 0x58
	s_load_dwordx4 s[8:11], s[0:1], 0x0
	;; [unrolled: 1-line block ×3, first 2 shown]
	v_lshrrev_b32_e32 v1, 4, v0
	v_lshl_or_b32 v6, s2, 2, v1
	v_mov_b32_e32 v4, 0
	s_waitcnt lgkmcnt(0)
	v_cmp_lt_u64_e64 s[2:3], s[10:11], 2
	v_mov_b32_e32 v7, v4
	s_and_b64 vcc, exec, s[2:3]
	v_mov_b64_e32 v[2:3], 0
	s_cbranch_vccnz .LBB0_8
; %bb.1:
	s_load_dwordx2 s[2:3], s[0:1], 0x10
	s_add_u32 s16, s14, 8
	s_addc_u32 s17, s15, 0
	s_add_u32 s18, s12, 8
	s_addc_u32 s19, s13, 0
	s_waitcnt lgkmcnt(0)
	s_add_u32 s20, s2, 8
	v_mov_b64_e32 v[2:3], 0
	s_addc_u32 s21, s3, 0
	s_mov_b64 s[22:23], 1
	v_mov_b64_e32 v[168:169], v[2:3]
.LBB0_2:                                ; =>This Inner Loop Header: Depth=1
	s_load_dwordx2 s[24:25], s[20:21], 0x0
                                        ; implicit-def: $vgpr172_vgpr173
	s_waitcnt lgkmcnt(0)
	v_or_b32_e32 v5, s25, v7
	v_cmp_ne_u64_e32 vcc, 0, v[4:5]
	s_and_saveexec_b64 s[2:3], vcc
	s_xor_b64 s[26:27], exec, s[2:3]
	s_cbranch_execz .LBB0_4
; %bb.3:                                ;   in Loop: Header=BB0_2 Depth=1
	v_cvt_f32_u32_e32 v5, s24
	v_cvt_f32_u32_e32 v8, s25
	s_sub_u32 s2, 0, s24
	s_subb_u32 s3, 0, s25
	v_fmac_f32_e32 v5, 0x4f800000, v8
	v_rcp_f32_e32 v5, v5
	s_nop 0
	v_mul_f32_e32 v5, 0x5f7ffffc, v5
	v_mul_f32_e32 v8, 0x2f800000, v5
	v_trunc_f32_e32 v8, v8
	v_fmac_f32_e32 v5, 0xcf800000, v8
	v_cvt_u32_f32_e32 v12, v8
	v_cvt_u32_f32_e32 v5, v5
	v_mul_lo_u32 v8, s2, v12
	v_mul_hi_u32 v10, s2, v5
	v_mul_lo_u32 v9, s3, v5
	v_add_u32_e32 v10, v10, v8
	v_mul_lo_u32 v13, s2, v5
	v_add_u32_e32 v14, v10, v9
	v_mul_hi_u32 v8, v5, v13
	v_mul_hi_u32 v11, v5, v14
	v_mul_lo_u32 v10, v5, v14
	v_mov_b32_e32 v9, v4
	v_lshl_add_u64 v[8:9], v[8:9], 0, v[10:11]
	v_mul_hi_u32 v11, v12, v13
	v_mul_lo_u32 v13, v12, v13
	v_add_co_u32_e32 v8, vcc, v8, v13
	v_mul_hi_u32 v10, v12, v14
	s_nop 0
	v_addc_co_u32_e32 v8, vcc, v9, v11, vcc
	v_mov_b32_e32 v9, v4
	s_nop 0
	v_addc_co_u32_e32 v11, vcc, 0, v10, vcc
	v_mul_lo_u32 v10, v12, v14
	v_lshl_add_u64 v[8:9], v[8:9], 0, v[10:11]
	v_add_co_u32_e32 v5, vcc, v5, v8
	v_mul_lo_u32 v10, s2, v5
	s_nop 0
	v_addc_co_u32_e32 v12, vcc, v12, v9, vcc
	v_mul_lo_u32 v8, s2, v12
	v_mul_hi_u32 v9, s2, v5
	v_add_u32_e32 v8, v9, v8
	v_mul_lo_u32 v9, s3, v5
	v_add_u32_e32 v13, v8, v9
	v_mul_hi_u32 v15, v12, v10
	v_mul_lo_u32 v16, v12, v10
	v_mul_hi_u32 v9, v5, v13
	v_mul_lo_u32 v8, v5, v13
	v_mul_hi_u32 v10, v5, v10
	v_mov_b32_e32 v11, v4
	v_lshl_add_u64 v[8:9], v[10:11], 0, v[8:9]
	v_add_co_u32_e32 v8, vcc, v8, v16
	v_mul_hi_u32 v14, v12, v13
	s_nop 0
	v_addc_co_u32_e32 v8, vcc, v9, v15, vcc
	v_mul_lo_u32 v10, v12, v13
	s_nop 0
	v_addc_co_u32_e32 v11, vcc, 0, v14, vcc
	v_mov_b32_e32 v9, v4
	v_lshl_add_u64 v[8:9], v[8:9], 0, v[10:11]
	v_add_co_u32_e32 v5, vcc, v5, v8
	v_mul_hi_u32 v10, v6, v5
	s_nop 0
	v_addc_co_u32_e32 v12, vcc, v12, v9, vcc
	v_mad_u64_u32 v[8:9], s[2:3], v6, v12, 0
	v_mov_b32_e32 v11, v4
	v_lshl_add_u64 v[8:9], v[10:11], 0, v[8:9]
	v_mad_u64_u32 v[10:11], s[2:3], v7, v12, 0
	v_mad_u64_u32 v[12:13], s[2:3], v7, v5, 0
	v_add_co_u32_e32 v5, vcc, v8, v12
	s_nop 1
	v_addc_co_u32_e32 v8, vcc, v9, v13, vcc
	v_mov_b32_e32 v9, v4
	s_nop 0
	v_addc_co_u32_e32 v11, vcc, 0, v11, vcc
	v_lshl_add_u64 v[8:9], v[8:9], 0, v[10:11]
	v_mul_lo_u32 v5, s25, v8
	v_mul_lo_u32 v12, s24, v9
	v_mad_u64_u32 v[10:11], s[2:3], s24, v8, 0
	v_add3_u32 v5, v11, v12, v5
	v_sub_u32_e32 v11, v7, v5
	v_mov_b32_e32 v12, s25
	v_sub_co_u32_e32 v14, vcc, v6, v10
	s_nop 1
	v_subb_co_u32_e64 v10, s[2:3], v11, v12, vcc
	v_subrev_co_u32_e64 v11, s[2:3], s24, v14
	v_subb_co_u32_e32 v5, vcc, v7, v5, vcc
	s_nop 0
	v_subbrev_co_u32_e64 v10, s[2:3], 0, v10, s[2:3]
	v_cmp_le_u32_e64 s[2:3], s25, v10
	v_cmp_le_u32_e32 vcc, s25, v5
	s_nop 0
	v_cndmask_b32_e64 v12, 0, -1, s[2:3]
	v_cmp_le_u32_e64 s[2:3], s24, v11
	s_nop 1
	v_cndmask_b32_e64 v11, 0, -1, s[2:3]
	v_cmp_eq_u32_e64 s[2:3], s25, v10
	s_nop 1
	v_cndmask_b32_e64 v15, v12, v11, s[2:3]
	v_lshl_add_u64 v[10:11], v[8:9], 0, 2
	v_lshl_add_u64 v[12:13], v[8:9], 0, 1
	v_cmp_ne_u32_e64 s[2:3], 0, v15
	s_nop 1
	v_cndmask_b32_e64 v11, v13, v11, s[2:3]
	v_cndmask_b32_e64 v13, 0, -1, vcc
	v_cmp_le_u32_e32 vcc, s24, v14
	s_nop 1
	v_cndmask_b32_e64 v14, 0, -1, vcc
	v_cmp_eq_u32_e32 vcc, s25, v5
	s_nop 1
	v_cndmask_b32_e32 v5, v13, v14, vcc
	v_cmp_ne_u32_e32 vcc, 0, v5
	v_cndmask_b32_e64 v5, v12, v10, s[2:3]
	s_nop 0
	v_cndmask_b32_e32 v173, v9, v11, vcc
	v_cndmask_b32_e32 v172, v8, v5, vcc
.LBB0_4:                                ;   in Loop: Header=BB0_2 Depth=1
	s_andn2_saveexec_b64 s[2:3], s[26:27]
	s_cbranch_execz .LBB0_6
; %bb.5:                                ;   in Loop: Header=BB0_2 Depth=1
	v_cvt_f32_u32_e32 v5, s24
	s_sub_i32 s26, 0, s24
	v_mov_b32_e32 v173, v4
	v_rcp_iflag_f32_e32 v5, v5
	s_nop 0
	v_mul_f32_e32 v5, 0x4f7ffffe, v5
	v_cvt_u32_f32_e32 v5, v5
	v_mul_lo_u32 v8, s26, v5
	v_mul_hi_u32 v8, v5, v8
	v_add_u32_e32 v5, v5, v8
	v_mul_hi_u32 v5, v6, v5
	v_mul_lo_u32 v8, v5, s24
	v_sub_u32_e32 v8, v6, v8
	v_add_u32_e32 v9, 1, v5
	v_subrev_u32_e32 v10, s24, v8
	v_cmp_le_u32_e32 vcc, s24, v8
	s_nop 1
	v_cndmask_b32_e32 v8, v8, v10, vcc
	v_cndmask_b32_e32 v5, v5, v9, vcc
	v_add_u32_e32 v9, 1, v5
	v_cmp_le_u32_e32 vcc, s24, v8
	s_nop 1
	v_cndmask_b32_e32 v172, v5, v9, vcc
.LBB0_6:                                ;   in Loop: Header=BB0_2 Depth=1
	s_or_b64 exec, exec, s[2:3]
	v_mad_u64_u32 v[8:9], s[2:3], v172, s24, 0
	s_load_dwordx2 s[2:3], s[18:19], 0x0
	v_mul_lo_u32 v5, v173, s24
	v_mul_lo_u32 v10, v172, s25
	s_load_dwordx2 s[24:25], s[16:17], 0x0
	s_add_u32 s22, s22, 1
	v_add3_u32 v5, v9, v10, v5
	v_sub_co_u32_e32 v6, vcc, v6, v8
	s_addc_u32 s23, s23, 0
	s_nop 0
	v_subb_co_u32_e32 v5, vcc, v7, v5, vcc
	s_add_u32 s16, s16, 8
	s_waitcnt lgkmcnt(0)
	v_mul_lo_u32 v7, s2, v5
	v_mul_lo_u32 v8, s3, v6
	v_mad_u64_u32 v[2:3], s[2:3], s2, v6, v[2:3]
	s_addc_u32 s17, s17, 0
	v_add3_u32 v3, v8, v3, v7
	v_mul_lo_u32 v5, s24, v5
	v_mul_lo_u32 v7, s25, v6
	v_mad_u64_u32 v[168:169], s[2:3], s24, v6, v[168:169]
	s_add_u32 s18, s18, 8
	v_add3_u32 v169, v7, v169, v5
	s_addc_u32 s19, s19, 0
	v_mov_b64_e32 v[6:7], s[10:11]
	s_add_u32 s20, s20, 8
	v_cmp_ge_u64_e32 vcc, s[22:23], v[6:7]
	s_addc_u32 s21, s21, 0
	s_cbranch_vccnz .LBB0_9
; %bb.7:                                ;   in Loop: Header=BB0_2 Depth=1
	v_mov_b64_e32 v[6:7], v[172:173]
	s_branch .LBB0_2
.LBB0_8:
	v_mov_b64_e32 v[168:169], v[2:3]
	v_mov_b64_e32 v[172:173], v[6:7]
.LBB0_9:
	s_load_dwordx2 s[0:1], s[0:1], 0x28
	s_lshl_b64 s[10:11], s[10:11], 3
	s_add_u32 s2, s14, s10
	s_addc_u32 s3, s15, s11
	v_and_b32_e32 v170, 15, v0
	s_waitcnt lgkmcnt(0)
	v_cmp_gt_u64_e32 vcc, s[0:1], v[172:173]
	v_cmp_le_u64_e64 s[0:1], s[0:1], v[172:173]
                                        ; implicit-def: $vgpr178
                                        ; implicit-def: $vgpr174
                                        ; implicit-def: $vgpr180
                                        ; implicit-def: $vgpr176
	s_and_saveexec_b64 s[14:15], s[0:1]
	s_xor_b64 s[0:1], exec, s[14:15]
; %bb.10:
	v_and_b32_e32 v178, 15, v0
	v_or_b32_e32 v174, 16, v178
	v_or_b32_e32 v180, 32, v178
	;; [unrolled: 1-line block ×3, first 2 shown]
                                        ; implicit-def: $vgpr2_vgpr3
                                        ; implicit-def: $vgpr170
; %bb.11:
	s_or_saveexec_b64 s[0:1], s[0:1]
	v_mul_u32_u24_e32 v0, 0x1e1, v1
	v_lshlrev_b32_e32 v179, 4, v0
	s_xor_b64 exec, exec, s[0:1]
	s_cbranch_execz .LBB0_13
; %bb.12:
	s_add_u32 s10, s12, s10
	s_addc_u32 s11, s13, s11
	s_load_dwordx2 s[10:11], s[10:11], 0x0
	v_lshlrev_b32_e32 v112, 4, v170
	v_mov_b32_e32 v113, 0
	v_or_b32_e32 v56, 0x1000, v112
	v_mov_b32_e32 v57, v113
	s_waitcnt lgkmcnt(0)
	v_mul_lo_u32 v4, s11, v172
	v_mul_lo_u32 v5, s10, v173
	v_mad_u64_u32 v[0:1], s[10:11], s10, v172, 0
	v_add3_u32 v1, v1, v5, v4
	v_lshl_add_u64 v[0:1], v[0:1], 4, s[4:5]
	v_lshl_add_u64 v[114:115], v[2:3], 4, v[0:1]
	;; [unrolled: 1-line block ×3, first 2 shown]
	global_load_dwordx4 v[0:3], v[64:65], off
	global_load_dwordx4 v[4:7], v[64:65], off offset:256
	global_load_dwordx4 v[8:11], v[64:65], off offset:512
	;; [unrolled: 1-line block ×13, first 2 shown]
	v_lshl_add_u64 v[92:93], v[114:115], 0, v[56:57]
	global_load_dwordx4 v[56:59], v[64:65], off offset:3584
	global_load_dwordx4 v[60:63], v[64:65], off offset:3840
	v_or_b32_e32 v64, 0x1100, v112
	v_mov_b32_e32 v65, v113
	v_or_b32_e32 v66, 0x1200, v112
	v_mov_b32_e32 v67, v113
	;; [unrolled: 2-line block ×11, first 2 shown]
	v_lshl_add_u64 v[94:95], v[114:115], 0, v[64:65]
	v_lshl_add_u64 v[96:97], v[114:115], 0, v[66:67]
	;; [unrolled: 1-line block ×10, first 2 shown]
	v_add3_u32 v120, 0, v179, v112
	v_lshl_add_u64 v[118:119], v[114:115], 0, v[84:85]
	global_load_dwordx4 v[64:67], v[92:93], off
	global_load_dwordx4 v[68:71], v[94:95], off
	;; [unrolled: 1-line block ×7, first 2 shown]
                                        ; kill: killed $vgpr100_vgpr101
                                        ; kill: killed $vgpr102_vgpr103
                                        ; kill: killed $vgpr104_vgpr105
                                        ; kill: killed $vgpr92_vgpr93
                                        ; kill: killed $vgpr94_vgpr95
                                        ; kill: killed $vgpr96_vgpr97
                                        ; kill: killed $vgpr98_vgpr99
	global_load_dwordx4 v[92:95], v[106:107], off
	s_nop 0
	global_load_dwordx4 v[96:99], v[108:109], off
	global_load_dwordx4 v[100:103], v[110:111], off
                                        ; kill: killed $vgpr106_vgpr107
                                        ; kill: killed $vgpr108_vgpr109
                                        ; kill: killed $vgpr110_vgpr111
	global_load_dwordx4 v[104:107], v[116:117], off
	s_nop 0
	global_load_dwordx4 v[108:111], v[118:119], off
	v_or_b32_e32 v116, 0x1c00, v112
	v_mov_b32_e32 v117, v113
	v_or_b32_e32 v112, 0x1d00, v112
	v_lshl_add_u64 v[116:117], v[114:115], 0, v[116:117]
	v_lshl_add_u64 v[118:119], v[114:115], 0, v[112:113]
	global_load_dwordx4 v[112:115], v[116:117], off
	s_nop 0
	global_load_dwordx4 v[116:119], v[118:119], off
	v_or_b32_e32 v174, 16, v170
	v_or_b32_e32 v180, 32, v170
	;; [unrolled: 1-line block ×3, first 2 shown]
	v_mov_b32_e32 v178, v170
	s_waitcnt vmcnt(29)
	ds_write_b128 v120, v[0:3]
	s_waitcnt vmcnt(28)
	ds_write_b128 v120, v[4:7] offset:256
	s_waitcnt vmcnt(27)
	ds_write_b128 v120, v[8:11] offset:512
	;; [unrolled: 2-line block ×29, first 2 shown]
.LBB0_13:
	s_or_b64 exec, exec, s[0:1]
	v_add_u32_e32 v184, 0, v179
	v_lshlrev_b32_e32 v175, 4, v178
	v_add_u32_e32 v171, v184, v175
	v_add_u32_e32 v0, 0, v175
	s_load_dwordx2 s[4:5], s[2:3], 0x0
	s_waitcnt lgkmcnt(0)
	; wave barrier
	s_waitcnt lgkmcnt(0)
	v_add_u32_e32 v177, v0, v179
	ds_read_b128 v[68:71], v171
	ds_read_b128 v[12:15], v177 offset:256
	ds_read_b128 v[36:39], v177 offset:1536
	;; [unrolled: 1-line block ×29, first 2 shown]
	s_waitcnt lgkmcnt(14)
	v_add_f64 v[40:41], v[68:69], v[36:37]
	v_add_f64 v[40:41], v[40:41], v[56:57]
	;; [unrolled: 1-line block ×5, first 2 shown]
	s_mov_b32 s14, 0x134454ff
	v_fma_f64 v[124:125], -0.5, v[40:41], v[68:69]
	v_add_f64 v[40:41], v[38:39], -v[74:75]
	s_mov_b32 s15, 0xbfee6f0e
	s_mov_b32 s12, 0x4755a5e
	;; [unrolled: 1-line block ×4, first 2 shown]
	v_fma_f64 v[130:131], s[14:15], v[40:41], v[124:125]
	v_add_f64 v[46:47], v[58:59], -v[66:67]
	s_mov_b32 s13, 0xbfe2cf23
	v_add_f64 v[126:127], v[36:37], -v[56:57]
	v_add_f64 v[132:133], v[72:73], -v[64:65]
	s_mov_b32 s2, 0x372fe950
	v_fmac_f64_e32 v[124:125], s[10:11], v[40:41]
	s_mov_b32 s1, 0x3fe2cf23
	s_mov_b32 s0, s12
	v_fmac_f64_e32 v[130:131], s[12:13], v[46:47]
	v_add_f64 v[126:127], v[126:127], v[132:133]
	s_mov_b32 s3, 0x3fd3c6ef
	v_fmac_f64_e32 v[124:125], s[0:1], v[46:47]
	v_fmac_f64_e32 v[130:131], s[2:3], v[126:127]
	;; [unrolled: 1-line block ×3, first 2 shown]
	v_add_f64 v[126:127], v[36:37], v[72:73]
	v_fmac_f64_e32 v[68:69], -0.5, v[126:127]
	v_fma_f64 v[136:137], s[10:11], v[46:47], v[68:69]
	v_fmac_f64_e32 v[68:69], s[14:15], v[46:47]
	v_fmac_f64_e32 v[136:137], s[12:13], v[40:41]
	;; [unrolled: 1-line block ×3, first 2 shown]
	v_add_f64 v[40:41], v[70:71], v[38:39]
	v_add_f64 v[40:41], v[40:41], v[58:59]
	v_add_f64 v[126:127], v[56:57], -v[36:37]
	v_add_f64 v[132:133], v[64:65], -v[72:73]
	v_add_f64 v[40:41], v[40:41], v[66:67]
	v_add_f64 v[126:127], v[126:127], v[132:133]
	;; [unrolled: 1-line block ×4, first 2 shown]
	v_fmac_f64_e32 v[136:137], s[2:3], v[126:127]
	v_fmac_f64_e32 v[68:69], s[2:3], v[126:127]
	v_fma_f64 v[126:127], -0.5, v[40:41], v[70:71]
	v_add_f64 v[36:37], v[36:37], -v[72:73]
	v_fma_f64 v[134:135], s[10:11], v[36:37], v[126:127]
	v_add_f64 v[40:41], v[56:57], -v[64:65]
	v_add_f64 v[46:47], v[38:39], -v[58:59]
	;; [unrolled: 1-line block ×3, first 2 shown]
	v_fmac_f64_e32 v[126:127], s[14:15], v[36:37]
	v_fmac_f64_e32 v[134:135], s[0:1], v[40:41]
	v_add_f64 v[46:47], v[46:47], v[56:57]
	v_fmac_f64_e32 v[126:127], s[12:13], v[40:41]
	v_fmac_f64_e32 v[134:135], s[2:3], v[46:47]
	;; [unrolled: 1-line block ×3, first 2 shown]
	v_add_f64 v[46:47], v[38:39], v[74:75]
	v_fmac_f64_e32 v[70:71], -0.5, v[46:47]
	v_fma_f64 v[138:139], s[14:15], v[40:41], v[70:71]
	v_fmac_f64_e32 v[70:71], s[10:11], v[40:41]
	v_fmac_f64_e32 v[138:139], s[0:1], v[36:37]
	;; [unrolled: 1-line block ×3, first 2 shown]
	v_add_f64 v[36:37], v[42:43], v[28:29]
	s_waitcnt lgkmcnt(11)
	v_add_f64 v[36:37], v[36:37], v[32:33]
	s_waitcnt lgkmcnt(7)
	v_add_f64 v[36:37], v[36:37], v[52:53]
	v_add_f64 v[38:39], v[58:59], -v[38:39]
	v_add_f64 v[46:47], v[66:67], -v[74:75]
	s_waitcnt lgkmcnt(3)
	v_add_f64 v[56:57], v[36:37], v[120:121]
	v_add_f64 v[36:37], v[32:33], v[52:53]
	;; [unrolled: 1-line block ×3, first 2 shown]
	v_fma_f64 v[46:47], -0.5, v[36:37], v[42:43]
	v_add_f64 v[36:37], v[30:31], -v[122:123]
	v_fmac_f64_e32 v[138:139], s[2:3], v[38:39]
	v_fmac_f64_e32 v[70:71], s[2:3], v[38:39]
	v_fma_f64 v[38:39], s[14:15], v[36:37], v[46:47]
	v_add_f64 v[40:41], v[34:35], -v[54:55]
	v_add_f64 v[58:59], v[28:29], -v[32:33]
	;; [unrolled: 1-line block ×3, first 2 shown]
	v_fmac_f64_e32 v[46:47], s[10:11], v[36:37]
	v_fmac_f64_e32 v[38:39], s[12:13], v[40:41]
	v_add_f64 v[58:59], v[58:59], v[64:65]
	v_fmac_f64_e32 v[46:47], s[0:1], v[40:41]
	v_fmac_f64_e32 v[38:39], s[2:3], v[58:59]
	;; [unrolled: 1-line block ×3, first 2 shown]
	v_add_f64 v[58:59], v[28:29], v[120:121]
	v_fmac_f64_e32 v[42:43], -0.5, v[58:59]
	v_fma_f64 v[58:59], s[10:11], v[40:41], v[42:43]
	v_fmac_f64_e32 v[42:43], s[14:15], v[40:41]
	v_fmac_f64_e32 v[58:59], s[12:13], v[36:37]
	;; [unrolled: 1-line block ×3, first 2 shown]
	v_add_f64 v[36:37], v[44:45], v[30:31]
	v_add_f64 v[36:37], v[36:37], v[34:35]
	v_add_f64 v[64:65], v[32:33], -v[28:29]
	v_add_f64 v[66:67], v[52:53], -v[120:121]
	v_add_f64 v[36:37], v[36:37], v[54:55]
	v_add_f64 v[64:65], v[64:65], v[66:67]
	;; [unrolled: 1-line block ×4, first 2 shown]
	v_fmac_f64_e32 v[58:59], s[2:3], v[64:65]
	v_fmac_f64_e32 v[42:43], s[2:3], v[64:65]
	v_fma_f64 v[64:65], -0.5, v[36:37], v[44:45]
	v_add_f64 v[28:29], v[28:29], -v[120:121]
	v_fma_f64 v[72:73], s[10:11], v[28:29], v[64:65]
	v_add_f64 v[32:33], v[32:33], -v[52:53]
	v_add_f64 v[36:37], v[30:31], -v[34:35]
	;; [unrolled: 1-line block ×3, first 2 shown]
	v_fmac_f64_e32 v[64:65], s[14:15], v[28:29]
	v_fmac_f64_e32 v[72:73], s[0:1], v[32:33]
	v_add_f64 v[36:37], v[36:37], v[40:41]
	v_fmac_f64_e32 v[64:65], s[12:13], v[32:33]
	v_fmac_f64_e32 v[72:73], s[2:3], v[36:37]
	;; [unrolled: 1-line block ×3, first 2 shown]
	v_add_f64 v[36:37], v[30:31], v[122:123]
	v_fmac_f64_e32 v[44:45], -0.5, v[36:37]
	v_fma_f64 v[52:53], s[14:15], v[32:33], v[44:45]
	v_add_f64 v[30:31], v[34:35], -v[30:31]
	v_add_f64 v[34:35], v[54:55], -v[122:123]
	v_fmac_f64_e32 v[44:45], s[10:11], v[32:33]
	v_add_f64 v[30:31], v[30:31], v[34:35]
	v_fmac_f64_e32 v[44:45], s[12:13], v[28:29]
	v_fmac_f64_e32 v[44:45], s[2:3], v[30:31]
	s_mov_b32 s20, 0x9b97f4a8
	v_fmac_f64_e32 v[52:53], s[0:1], v[28:29]
	s_mov_b32 s21, 0x3fe9e377
	v_mul_f64 v[120:121], v[44:45], s[14:15]
	s_mov_b32 s19, 0xbfd3c6ef
	s_mov_b32 s18, s2
	v_mul_f64 v[122:123], v[64:65], s[12:13]
	s_mov_b32 s17, 0xbfe9e377
	s_mov_b32 s16, s20
	v_fmac_f64_e32 v[52:53], s[2:3], v[30:31]
	v_fmac_f64_e32 v[120:121], s[18:19], v[42:43]
	v_fmac_f64_e32 v[122:123], s[16:17], v[46:47]
	v_mul_f64 v[140:141], v[38:39], s[0:1]
	v_mul_f64 v[54:55], v[72:73], s[12:13]
	;; [unrolled: 1-line block ×3, first 2 shown]
	v_add_f64 v[40:41], v[68:69], v[120:121]
	v_fmac_f64_e32 v[140:141], s[20:21], v[72:73]
	v_mul_f64 v[142:143], v[44:45], s[18:19]
	v_add_f64 v[44:45], v[124:125], v[122:123]
	v_mul_f64 v[146:147], v[64:65], s[16:17]
	v_add_f64 v[72:73], v[68:69], -v[120:121]
	v_add_f64 v[68:69], v[124:125], -v[122:123]
	v_add_f64 v[122:123], v[96:97], v[100:101]
	v_fmac_f64_e32 v[54:55], s[20:21], v[38:39]
	v_fmac_f64_e32 v[74:75], s[2:3], v[58:59]
	;; [unrolled: 1-line block ×4, first 2 shown]
	v_fma_f64 v[122:123], -0.5, v[122:123], v[12:13]
	v_add_f64 v[124:125], v[94:95], -v[106:107]
	v_add_f64 v[36:37], v[128:129], v[56:57]
	v_add_f64 v[32:33], v[130:131], v[54:55]
	;; [unrolled: 1-line block ×4, first 2 shown]
	v_mul_f64 v[144:145], v[52:53], s[2:3]
	v_add_f64 v[42:43], v[70:71], v[142:143]
	v_add_f64 v[46:47], v[126:127], v[146:147]
	v_add_f64 v[64:65], v[128:129], -v[56:57]
	v_add_f64 v[56:57], v[130:131], -v[54:55]
	;; [unrolled: 1-line block ×6, first 2 shown]
	v_fma_f64 v[126:127], s[14:15], v[124:125], v[122:123]
	v_add_f64 v[128:129], v[98:99], -v[102:103]
	v_add_f64 v[130:131], v[92:93], -v[96:97]
	;; [unrolled: 1-line block ×3, first 2 shown]
	v_fmac_f64_e32 v[122:123], s[10:11], v[124:125]
	v_fmac_f64_e32 v[126:127], s[12:13], v[128:129]
	v_add_f64 v[130:131], v[130:131], v[132:133]
	v_fmac_f64_e32 v[122:123], s[0:1], v[128:129]
	v_fmac_f64_e32 v[126:127], s[2:3], v[130:131]
	;; [unrolled: 1-line block ×3, first 2 shown]
	v_add_f64 v[130:131], v[92:93], v[104:105]
	v_add_f64 v[120:121], v[12:13], v[92:93]
	v_fmac_f64_e32 v[12:13], -0.5, v[130:131]
	v_fma_f64 v[132:133], s[10:11], v[128:129], v[12:13]
	v_fmac_f64_e32 v[12:13], s[14:15], v[128:129]
	v_fmac_f64_e32 v[132:133], s[12:13], v[124:125]
	;; [unrolled: 1-line block ×3, first 2 shown]
	v_add_f64 v[124:125], v[14:15], v[94:95]
	v_add_f64 v[124:125], v[124:125], v[98:99]
	v_add_f64 v[124:125], v[124:125], v[102:103]
	v_add_f64 v[34:35], v[134:135], v[140:141]
	v_fmac_f64_e32 v[144:145], s[10:11], v[58:59]
	v_add_f64 v[58:59], v[134:135], -v[140:141]
	v_add_f64 v[120:121], v[120:121], v[96:97]
	v_add_f64 v[130:131], v[96:97], -v[92:93]
	v_add_f64 v[134:135], v[100:101], -v[104:105]
	v_add_f64 v[128:129], v[124:125], v[106:107]
	v_add_f64 v[124:125], v[98:99], v[102:103]
	;; [unrolled: 1-line block ×4, first 2 shown]
	v_fma_f64 v[124:125], -0.5, v[124:125], v[14:15]
	v_add_f64 v[92:93], v[92:93], -v[104:105]
	v_add_f64 v[120:121], v[120:121], v[104:105]
	v_fmac_f64_e32 v[132:133], s[2:3], v[130:131]
	v_fmac_f64_e32 v[12:13], s[2:3], v[130:131]
	v_fma_f64 v[130:131], s[10:11], v[92:93], v[124:125]
	v_add_f64 v[96:97], v[96:97], -v[100:101]
	v_add_f64 v[100:101], v[94:95], -v[98:99]
	;; [unrolled: 1-line block ×3, first 2 shown]
	v_fmac_f64_e32 v[124:125], s[14:15], v[92:93]
	v_fmac_f64_e32 v[130:131], s[0:1], v[96:97]
	v_add_f64 v[100:101], v[100:101], v[104:105]
	v_fmac_f64_e32 v[124:125], s[12:13], v[96:97]
	v_fmac_f64_e32 v[130:131], s[2:3], v[100:101]
	;; [unrolled: 1-line block ×3, first 2 shown]
	v_add_f64 v[100:101], v[94:95], v[106:107]
	v_fmac_f64_e32 v[14:15], -0.5, v[100:101]
	v_fma_f64 v[134:135], s[14:15], v[96:97], v[14:15]
	v_fmac_f64_e32 v[14:15], s[10:11], v[96:97]
	v_fmac_f64_e32 v[134:135], s[0:1], v[92:93]
	;; [unrolled: 1-line block ×3, first 2 shown]
	v_add_f64 v[92:93], v[84:85], v[88:89]
	v_add_f64 v[92:93], v[92:93], v[108:109]
	;; [unrolled: 1-line block ×3, first 2 shown]
	v_add_f64 v[94:95], v[98:99], -v[94:95]
	v_add_f64 v[98:99], v[102:103], -v[106:107]
	s_waitcnt lgkmcnt(1)
	v_add_f64 v[104:105], v[92:93], v[116:117]
	v_add_f64 v[92:93], v[108:109], v[112:113]
	;; [unrolled: 1-line block ×3, first 2 shown]
	v_fma_f64 v[106:107], -0.5, v[92:93], v[84:85]
	v_add_f64 v[92:93], v[90:91], -v[118:119]
	v_fmac_f64_e32 v[134:135], s[2:3], v[94:95]
	v_fmac_f64_e32 v[14:15], s[2:3], v[94:95]
	v_fma_f64 v[94:95], s[14:15], v[92:93], v[106:107]
	v_add_f64 v[96:97], v[110:111], -v[114:115]
	v_add_f64 v[98:99], v[88:89], -v[108:109]
	;; [unrolled: 1-line block ×3, first 2 shown]
	v_fmac_f64_e32 v[106:107], s[10:11], v[92:93]
	v_fmac_f64_e32 v[94:95], s[12:13], v[96:97]
	v_add_f64 v[98:99], v[98:99], v[100:101]
	v_fmac_f64_e32 v[106:107], s[0:1], v[96:97]
	v_fmac_f64_e32 v[94:95], s[2:3], v[98:99]
	;; [unrolled: 1-line block ×3, first 2 shown]
	v_add_f64 v[98:99], v[88:89], v[116:117]
	v_fmac_f64_e32 v[84:85], -0.5, v[98:99]
	v_fma_f64 v[102:103], s[10:11], v[96:97], v[84:85]
	v_fmac_f64_e32 v[84:85], s[14:15], v[96:97]
	v_fmac_f64_e32 v[102:103], s[12:13], v[92:93]
	;; [unrolled: 1-line block ×3, first 2 shown]
	v_add_f64 v[92:93], v[86:87], v[90:91]
	v_add_f64 v[92:93], v[92:93], v[110:111]
	;; [unrolled: 1-line block ×3, first 2 shown]
	v_add_f64 v[98:99], v[108:109], -v[88:89]
	v_add_f64 v[100:101], v[112:113], -v[116:117]
	v_add_f64 v[136:137], v[92:93], v[118:119]
	v_add_f64 v[92:93], v[110:111], v[114:115]
	;; [unrolled: 1-line block ×3, first 2 shown]
	v_add_f64 v[54:55], v[138:139], -v[144:145]
	v_add_f64 v[98:99], v[98:99], v[100:101]
	v_fma_f64 v[138:139], -0.5, v[92:93], v[86:87]
	v_add_f64 v[88:89], v[88:89], -v[116:117]
	v_fmac_f64_e32 v[102:103], s[2:3], v[98:99]
	v_fmac_f64_e32 v[84:85], s[2:3], v[98:99]
	v_fma_f64 v[98:99], s[10:11], v[88:89], v[138:139]
	v_add_f64 v[92:93], v[108:109], -v[112:113]
	v_add_f64 v[96:97], v[90:91], -v[110:111]
	;; [unrolled: 1-line block ×3, first 2 shown]
	v_fmac_f64_e32 v[138:139], s[14:15], v[88:89]
	v_fmac_f64_e32 v[98:99], s[0:1], v[92:93]
	v_add_f64 v[96:97], v[96:97], v[100:101]
	v_fmac_f64_e32 v[138:139], s[12:13], v[92:93]
	v_fmac_f64_e32 v[98:99], s[2:3], v[96:97]
	;; [unrolled: 1-line block ×3, first 2 shown]
	v_add_f64 v[96:97], v[90:91], v[118:119]
	v_fmac_f64_e32 v[86:87], -0.5, v[96:97]
	v_fma_f64 v[108:109], s[14:15], v[92:93], v[86:87]
	v_add_f64 v[90:91], v[110:111], -v[90:91]
	v_add_f64 v[96:97], v[114:115], -v[118:119]
	v_fmac_f64_e32 v[86:87], s[10:11], v[92:93]
	v_add_f64 v[90:91], v[90:91], v[96:97]
	v_fmac_f64_e32 v[86:87], s[12:13], v[88:89]
	v_fmac_f64_e32 v[108:109], s[0:1], v[88:89]
	;; [unrolled: 1-line block ×4, first 2 shown]
	v_mul_f64 v[116:117], v[86:87], s[14:15]
	v_mul_f64 v[118:119], v[138:139], s[12:13]
	;; [unrolled: 1-line block ×4, first 2 shown]
	v_fmac_f64_e32 v[116:117], s[18:19], v[84:85]
	v_fmac_f64_e32 v[118:119], s[16:17], v[106:107]
	;; [unrolled: 1-line block ×3, first 2 shown]
	v_mul_f64 v[144:145], v[108:109], s[2:3]
	v_mul_f64 v[138:139], v[138:139], s[16:17]
	v_add_f64 v[96:97], v[120:121], v[104:105]
	v_mul_f64 v[110:111], v[98:99], s[12:13]
	v_fmac_f64_e32 v[114:115], s[2:3], v[102:103]
	v_add_f64 v[100:101], v[12:13], v[116:117]
	v_mul_f64 v[140:141], v[94:95], s[0:1]
	v_add_f64 v[84:85], v[122:123], v[118:119]
	v_fmac_f64_e32 v[144:145], s[10:11], v[102:103]
	v_add_f64 v[102:103], v[14:15], v[142:143]
	v_fmac_f64_e32 v[138:139], s[0:1], v[106:107]
	v_add_f64 v[112:113], v[120:121], -v[104:105]
	v_add_f64 v[120:121], v[12:13], -v[116:117]
	;; [unrolled: 1-line block ×4, first 2 shown]
	v_add_f64 v[14:15], v[60:61], v[76:77]
	v_fmac_f64_e32 v[110:111], s[20:21], v[94:95]
	v_fmac_f64_e32 v[140:141], s[20:21], v[98:99]
	v_add_f64 v[86:87], v[124:125], v[138:139]
	v_add_f64 v[118:119], v[124:125], -v[138:139]
	v_fma_f64 v[14:15], -0.5, v[14:15], v[16:17]
	v_add_f64 v[124:125], v[50:51], -v[82:83]
	v_add_f64 v[92:93], v[126:127], v[110:111]
	v_add_f64 v[88:89], v[132:133], v[114:115]
	;; [unrolled: 1-line block ×4, first 2 shown]
	v_add_f64 v[108:109], v[126:127], -v[110:111]
	v_add_f64 v[104:105], v[132:133], -v[114:115]
	;; [unrolled: 1-line block ×4, first 2 shown]
	v_fma_f64 v[126:127], s[14:15], v[124:125], v[14:15]
	v_add_f64 v[128:129], v[62:63], -v[78:79]
	v_add_f64 v[130:131], v[48:49], -v[60:61]
	v_add_f64 v[132:133], v[80:81], -v[76:77]
	v_fmac_f64_e32 v[14:15], s[10:11], v[124:125]
	v_fmac_f64_e32 v[126:127], s[12:13], v[128:129]
	v_add_f64 v[130:131], v[130:131], v[132:133]
	v_fmac_f64_e32 v[14:15], s[0:1], v[128:129]
	v_fmac_f64_e32 v[126:127], s[2:3], v[130:131]
	v_fmac_f64_e32 v[14:15], s[2:3], v[130:131]
	v_add_f64 v[130:131], v[48:49], v[80:81]
	v_add_f64 v[12:13], v[16:17], v[48:49]
	v_fmac_f64_e32 v[16:17], -0.5, v[130:131]
	v_fma_f64 v[130:131], s[10:11], v[128:129], v[16:17]
	v_fmac_f64_e32 v[16:17], s[14:15], v[128:129]
	v_fmac_f64_e32 v[130:131], s[12:13], v[124:125]
	;; [unrolled: 1-line block ×3, first 2 shown]
	v_add_f64 v[124:125], v[18:19], v[50:51]
	v_add_f64 v[124:125], v[124:125], v[62:63]
	;; [unrolled: 1-line block ×4, first 2 shown]
	v_add_f64 v[106:107], v[134:135], -v[144:145]
	v_add_f64 v[12:13], v[12:13], v[60:61]
	v_add_f64 v[132:133], v[60:61], -v[48:49]
	v_add_f64 v[134:135], v[76:77], -v[80:81]
	v_add_f64 v[128:129], v[124:125], v[82:83]
	v_add_f64 v[124:125], v[62:63], v[78:79]
	;; [unrolled: 1-line block ×4, first 2 shown]
	v_fma_f64 v[124:125], -0.5, v[124:125], v[18:19]
	v_add_f64 v[48:49], v[48:49], -v[80:81]
	v_add_f64 v[12:13], v[12:13], v[80:81]
	v_fmac_f64_e32 v[130:131], s[2:3], v[132:133]
	v_fmac_f64_e32 v[16:17], s[2:3], v[132:133]
	v_fma_f64 v[80:81], s[10:11], v[48:49], v[124:125]
	v_add_f64 v[60:61], v[60:61], -v[76:77]
	v_add_f64 v[76:77], v[50:51], -v[62:63]
	;; [unrolled: 1-line block ×3, first 2 shown]
	v_fmac_f64_e32 v[124:125], s[14:15], v[48:49]
	v_fmac_f64_e32 v[80:81], s[0:1], v[60:61]
	v_add_f64 v[76:77], v[76:77], v[132:133]
	v_fmac_f64_e32 v[124:125], s[12:13], v[60:61]
	v_fmac_f64_e32 v[80:81], s[2:3], v[76:77]
	;; [unrolled: 1-line block ×3, first 2 shown]
	v_add_f64 v[76:77], v[50:51], v[82:83]
	v_fmac_f64_e32 v[18:19], -0.5, v[76:77]
	v_fma_f64 v[132:133], s[14:15], v[60:61], v[18:19]
	v_fmac_f64_e32 v[18:19], s[10:11], v[60:61]
	v_fmac_f64_e32 v[132:133], s[0:1], v[48:49]
	;; [unrolled: 1-line block ×3, first 2 shown]
	v_add_f64 v[48:49], v[0:1], v[4:5]
	v_add_f64 v[48:49], v[48:49], v[8:9]
	;; [unrolled: 1-line block ×3, first 2 shown]
	v_add_f64 v[50:51], v[62:63], -v[50:51]
	v_add_f64 v[62:63], v[78:79], -v[82:83]
	s_waitcnt lgkmcnt(0)
	v_add_f64 v[82:83], v[48:49], v[24:25]
	v_add_f64 v[48:49], v[8:9], v[20:21]
	;; [unrolled: 1-line block ×3, first 2 shown]
	v_fma_f64 v[134:135], -0.5, v[48:49], v[0:1]
	v_add_f64 v[48:49], v[6:7], -v[26:27]
	v_fmac_f64_e32 v[132:133], s[2:3], v[50:51]
	v_fmac_f64_e32 v[18:19], s[2:3], v[50:51]
	v_fma_f64 v[50:51], s[14:15], v[48:49], v[134:135]
	v_add_f64 v[60:61], v[10:11], -v[22:23]
	v_add_f64 v[62:63], v[4:5], -v[8:9]
	;; [unrolled: 1-line block ×3, first 2 shown]
	v_fmac_f64_e32 v[134:135], s[10:11], v[48:49]
	v_fmac_f64_e32 v[50:51], s[12:13], v[60:61]
	v_add_f64 v[62:63], v[62:63], v[76:77]
	v_fmac_f64_e32 v[134:135], s[0:1], v[60:61]
	v_fmac_f64_e32 v[50:51], s[2:3], v[62:63]
	;; [unrolled: 1-line block ×3, first 2 shown]
	v_add_f64 v[62:63], v[4:5], v[24:25]
	v_fmac_f64_e32 v[0:1], -0.5, v[62:63]
	v_fma_f64 v[78:79], s[10:11], v[60:61], v[0:1]
	v_fmac_f64_e32 v[0:1], s[14:15], v[60:61]
	v_fmac_f64_e32 v[78:79], s[12:13], v[48:49]
	;; [unrolled: 1-line block ×3, first 2 shown]
	v_add_f64 v[48:49], v[2:3], v[6:7]
	v_add_f64 v[48:49], v[48:49], v[10:11]
	;; [unrolled: 1-line block ×3, first 2 shown]
	v_add_f64 v[62:63], v[8:9], -v[4:5]
	v_add_f64 v[76:77], v[20:21], -v[24:25]
	v_add_f64 v[136:137], v[48:49], v[26:27]
	v_add_f64 v[48:49], v[10:11], v[22:23]
	;; [unrolled: 1-line block ×3, first 2 shown]
	v_fma_f64 v[138:139], -0.5, v[48:49], v[2:3]
	v_add_f64 v[4:5], v[4:5], -v[24:25]
	v_fmac_f64_e32 v[78:79], s[2:3], v[62:63]
	v_fmac_f64_e32 v[0:1], s[2:3], v[62:63]
	v_fma_f64 v[62:63], s[10:11], v[4:5], v[138:139]
	v_add_f64 v[8:9], v[8:9], -v[20:21]
	v_add_f64 v[20:21], v[6:7], -v[10:11]
	;; [unrolled: 1-line block ×3, first 2 shown]
	v_fmac_f64_e32 v[138:139], s[14:15], v[4:5]
	v_fmac_f64_e32 v[62:63], s[0:1], v[8:9]
	v_add_f64 v[20:21], v[20:21], v[24:25]
	v_fmac_f64_e32 v[138:139], s[12:13], v[8:9]
	v_fmac_f64_e32 v[62:63], s[2:3], v[20:21]
	;; [unrolled: 1-line block ×3, first 2 shown]
	v_add_f64 v[20:21], v[6:7], v[26:27]
	v_fmac_f64_e32 v[2:3], -0.5, v[20:21]
	v_fma_f64 v[20:21], s[14:15], v[8:9], v[2:3]
	v_add_f64 v[6:7], v[10:11], -v[6:7]
	v_add_f64 v[10:11], v[22:23], -v[26:27]
	v_fmac_f64_e32 v[20:21], s[0:1], v[4:5]
	v_add_f64 v[6:7], v[6:7], v[10:11]
	v_fmac_f64_e32 v[20:21], s[2:3], v[6:7]
	v_fmac_f64_e32 v[2:3], s[10:11], v[8:9]
	;; [unrolled: 1-line block ×3, first 2 shown]
	v_mul_f64 v[10:11], v[20:21], s[14:15]
	v_mul_f64 v[142:143], v[50:51], s[0:1]
	v_fmac_f64_e32 v[2:3], s[2:3], v[6:7]
	v_mul_f64 v[6:7], v[62:63], s[12:13]
	v_fmac_f64_e32 v[10:11], s[2:3], v[78:79]
	v_fmac_f64_e32 v[142:143], s[20:21], v[62:63]
	v_add_f64 v[60:61], v[12:13], v[82:83]
	v_fmac_f64_e32 v[6:7], s[20:21], v[50:51]
	v_add_f64 v[24:25], v[130:131], v[10:11]
	v_add_f64 v[50:51], v[80:81], v[142:143]
	v_add_f64 v[4:5], v[12:13], -v[82:83]
	v_add_f64 v[12:13], v[130:131], -v[10:11]
	;; [unrolled: 1-line block ×3, first 2 shown]
	v_mul_u32_u24_e32 v80, 10, v178
	v_lshl_add_u32 v80, v80, 4, v184
	s_waitcnt lgkmcnt(0)
	; wave barrier
	ds_write_b128 v80, v[36:39]
	ds_write_b128 v80, v[32:35] offset:16
	ds_write_b128 v80, v[28:31] offset:32
	;; [unrolled: 1-line block ×9, first 2 shown]
	v_mul_i32_i24_e32 v28, 10, v174
	v_mul_f64 v[22:23], v[2:3], s[14:15]
	v_mul_f64 v[144:145], v[2:3], s[18:19]
	v_lshl_add_u32 v28, v28, 4, v184
	v_fmac_f64_e32 v[22:23], s[18:19], v[0:1]
	v_mul_f64 v[140:141], v[138:139], s[12:13]
	v_fmac_f64_e32 v[144:145], s[10:11], v[0:1]
	v_mul_f64 v[146:147], v[20:21], s[2:3]
	v_mul_f64 v[138:139], v[138:139], s[16:17]
	ds_write_b128 v28, v[96:99]
	ds_write_b128 v28, v[92:95] offset:16
	ds_write_b128 v28, v[88:91] offset:32
	;; [unrolled: 1-line block ×9, first 2 shown]
	v_mul_i32_i24_e32 v28, 10, v180
	v_add_f64 v[48:49], v[126:127], v[6:7]
	v_add_f64 v[76:77], v[16:17], v[22:23]
	v_fmac_f64_e32 v[140:141], s[16:17], v[134:135]
	v_add_f64 v[62:63], v[128:129], v[136:137]
	v_fmac_f64_e32 v[146:147], s[10:11], v[78:79]
	;; [unrolled: 2-line block ×3, first 2 shown]
	v_lshl_add_u32 v28, v28, 4, v184
	v_lshl_add_u32 v186, v174, 4, v184
	v_add_f64 v[0:1], v[14:15], v[140:141]
	v_add_f64 v[26:27], v[132:133], v[146:147]
	;; [unrolled: 1-line block ×3, first 2 shown]
	v_add_f64 v[8:9], v[126:127], -v[6:7]
	v_add_f64 v[16:17], v[16:17], -v[22:23]
	;; [unrolled: 1-line block ×7, first 2 shown]
	ds_write_b128 v28, v[60:63]
	ds_write_b128 v28, v[48:51] offset:16
	ds_write_b128 v28, v[24:27] offset:32
	;; [unrolled: 1-line block ×9, first 2 shown]
	s_waitcnt lgkmcnt(0)
	; wave barrier
	s_waitcnt lgkmcnt(0)
	ds_read_b128 v[40:43], v171
	ds_read_b128 v[84:87], v177 offset:960
	ds_read_b128 v[92:95], v177 offset:1920
	;; [unrolled: 1-line block ×7, first 2 shown]
	v_lshl_add_u32 v185, v180, 4, v184
	ds_read_b128 v[36:39], v186
	ds_read_b128 v[32:35], v185
	ds_read_b128 v[96:99], v177 offset:1216
	ds_read_b128 v[76:79], v177 offset:1472
	ds_read_b128 v[116:119], v177 offset:2880
	ds_read_b128 v[68:71], v177 offset:2432
	ds_read_b128 v[100:103], v177 offset:3136
	ds_read_b128 v[60:63], v177 offset:3392
	ds_read_b128 v[120:123], v177 offset:4800
	ds_read_b128 v[56:59], v177 offset:4352
	ds_read_b128 v[104:107], v177 offset:5056
	ds_read_b128 v[52:55], v177 offset:5312
	ds_read_b128 v[124:127], v177 offset:6720
	ds_read_b128 v[48:51], v177 offset:6272
	ds_read_b128 v[88:91], v177 offset:6976
	ds_read_b128 v[44:47], v177 offset:7232
	v_cmp_gt_u32_e64 s[0:1], 12, v178
	v_lshlrev_b32_e32 v181, 4, v176
                                        ; implicit-def: $vgpr26_vgpr27
                                        ; implicit-def: $vgpr30_vgpr31
	s_and_saveexec_b64 s[2:3], s[0:1]
	s_cbranch_execz .LBB0_15
; %bb.14:
	v_add3_u32 v0, 0, v181, v179
	ds_read_b128 v[4:7], v177 offset:1728
	ds_read_b128 v[8:11], v177 offset:2688
	;; [unrolled: 1-line block ×6, first 2 shown]
	ds_read_b128 v[0:3], v0
	ds_read_b128 v[28:31], v177 offset:7488
.LBB0_15:
	s_or_b64 exec, exec, s[2:3]
	s_movk_i32 s14, 0xcd
	v_mul_lo_u16_sdwa v156, v174, s14 dst_sel:DWORD dst_unused:UNUSED_PAD src0_sel:BYTE_0 src1_sel:DWORD
	v_add_u32_e32 v128, -10, v178
	v_cmp_gt_u32_e64 s[2:3], 10, v178
	v_lshrrev_b16_e32 v188, 11, v156
	v_mul_lo_u16_e32 v156, 10, v188
	v_cndmask_b32_e64 v187, v128, v178, s[2:3]
	v_mul_i32_i24_e32 v182, 7, v187
	v_mov_b32_e32 v183, 0
	v_sub_u16_e32 v189, v174, v156
	v_mul_lo_u16_sdwa v191, v180, s14 dst_sel:DWORD dst_unused:UNUSED_PAD src0_sel:BYTE_0 src1_sel:DWORD
	v_lshl_add_u64 v[152:153], v[182:183], 4, s[8:9]
	v_mov_b32_e32 v182, 4
	v_mul_lo_u16_e32 v156, 7, v189
	v_lshrrev_b16_e32 v191, 11, v191
	v_lshlrev_b32_sdwa v190, v182, v156 dst_sel:DWORD dst_unused:UNUSED_PAD src0_sel:DWORD src1_sel:BYTE_0
	v_mul_lo_u16_e32 v192, 10, v191
	global_load_dwordx4 v[140:143], v[152:153], off
	global_load_dwordx4 v[136:139], v[152:153], off offset:16
	global_load_dwordx4 v[132:135], v[152:153], off offset:32
	;; [unrolled: 1-line block ×5, first 2 shown]
	s_nop 0
	global_load_dwordx4 v[152:155], v[152:153], off offset:96
	s_nop 0
	global_load_dwordx4 v[164:167], v190, s[8:9]
	global_load_dwordx4 v[160:163], v190, s[8:9] offset:16
	global_load_dwordx4 v[156:159], v190, s[8:9] offset:32
	;; [unrolled: 1-line block ×6, first 2 shown]
	v_mov_b32_e32 v190, 7
	v_sub_u16_e32 v192, v180, v192
	v_mul_u32_u24_sdwa v193, v192, v190 dst_sel:DWORD dst_unused:UNUSED_PAD src0_sel:BYTE_0 src1_sel:DWORD
	v_lshlrev_b32_e32 v193, 4, v193
	global_load_dwordx4 v[210:213], v193, s[8:9]
	global_load_dwordx4 v[214:217], v193, s[8:9] offset:16
	global_load_dwordx4 v[218:221], v193, s[8:9] offset:32
	global_load_dwordx4 v[222:225], v193, s[8:9] offset:48
	global_load_dwordx4 v[226:229], v193, s[8:9] offset:64
	global_load_dwordx4 v[230:233], v193, s[8:9] offset:80
	global_load_dwordx4 v[234:237], v193, s[8:9] offset:96
	s_mov_b32 s10, 0x667f3bcd
	s_mov_b32 s11, 0xbfe6a09e
	;; [unrolled: 1-line block ×4, first 2 shown]
	v_cmp_lt_u32_e64 s[2:3], 9, v178
	s_waitcnt lgkmcnt(0)
	; wave barrier
	s_waitcnt vmcnt(20) lgkmcnt(0)
	v_mul_f64 v[238:239], v[86:87], v[142:143]
	v_mul_f64 v[142:143], v[84:85], v[142:143]
	s_waitcnt vmcnt(19)
	v_mul_f64 v[240:241], v[94:95], v[138:139]
	v_mul_f64 v[138:139], v[92:93], v[138:139]
	s_waitcnt vmcnt(18)
	v_mul_f64 v[242:243], v[118:119], v[134:135]
	s_waitcnt vmcnt(17)
	v_mul_f64 v[244:245], v[114:115], v[130:131]
	v_mul_f64 v[130:131], v[112:113], v[130:131]
	v_mul_f64 v[134:135], v[116:117], v[134:135]
	v_fmac_f64_e32 v[238:239], v[84:85], v[140:141]
	v_fma_f64 v[84:85], v[86:87], v[140:141], -v[142:143]
	v_fma_f64 v[86:87], v[94:95], v[136:137], -v[138:139]
	v_fmac_f64_e32 v[242:243], v[116:117], v[132:133]
	v_fma_f64 v[94:95], v[114:115], v[128:129], -v[130:131]
	s_waitcnt vmcnt(13)
	v_mul_f64 v[114:115], v[98:99], v[166:167]
	v_mul_f64 v[116:117], v[96:97], v[166:167]
	;; [unrolled: 1-line block ×5, first 2 shown]
	v_fmac_f64_e32 v[114:115], v[96:97], v[164:165]
	v_fma_f64 v[96:97], v[98:99], v[164:165], -v[116:117]
	s_waitcnt vmcnt(7)
	v_mul_f64 v[98:99], v[66:67], v[208:209]
	v_mul_f64 v[248:249], v[110:111], v[146:147]
	;; [unrolled: 1-line block ×4, first 2 shown]
	v_fmac_f64_e32 v[240:241], v[92:93], v[136:137]
	v_fma_f64 v[92:93], v[118:119], v[132:133], -v[134:135]
	v_fmac_f64_e32 v[244:245], v[112:113], v[128:129]
	v_fmac_f64_e32 v[246:247], v[120:121], v[148:149]
	v_fma_f64 v[112:113], v[122:123], v[148:149], -v[150:151]
	v_fmac_f64_e32 v[250:251], v[124:125], v[152:153]
	v_mul_f64 v[118:119], v[82:83], v[162:163]
	v_mul_f64 v[120:121], v[80:81], v[162:163]
	;; [unrolled: 1-line block ×4, first 2 shown]
	v_fmac_f64_e32 v[98:99], v[64:65], v[206:207]
	v_mul_f64 v[64:65], v[64:65], v[208:209]
	v_fmac_f64_e32 v[248:249], v[108:109], v[144:145]
	v_fma_f64 v[108:109], v[110:111], v[144:145], -v[146:147]
	v_fma_f64 v[110:111], v[126:127], v[152:153], -v[154:155]
	v_mul_f64 v[126:127], v[74:75], v[196:197]
	v_mul_f64 v[128:129], v[72:73], v[196:197]
	;; [unrolled: 1-line block ×3, first 2 shown]
	v_fmac_f64_e32 v[118:119], v[80:81], v[160:161]
	v_fma_f64 v[80:81], v[82:83], v[160:161], -v[120:121]
	v_fmac_f64_e32 v[122:123], v[100:101], v[156:157]
	v_fma_f64 v[82:83], v[102:103], v[156:157], -v[124:125]
	v_fma_f64 v[100:101], v[66:67], v[206:207], -v[64:65]
	v_mul_f64 v[102:103], v[90:91], v[204:205]
	v_mul_f64 v[64:65], v[88:89], v[204:205]
	v_fmac_f64_e32 v[126:127], v[72:73], v[194:195]
	v_fma_f64 v[72:73], v[74:75], v[194:195], -v[128:129]
	v_fma_f64 v[74:75], v[106:107], v[198:199], -v[132:133]
	v_fmac_f64_e32 v[102:103], v[88:89], v[202:203]
	v_fma_f64 v[88:89], v[90:91], v[202:203], -v[64:65]
	s_waitcnt vmcnt(6)
	v_mul_f64 v[64:65], v[76:77], v[212:213]
	s_waitcnt vmcnt(3)
	v_mul_f64 v[132:133], v[58:59], v[224:225]
	;; [unrolled: 2-line block ×4, first 2 shown]
	v_mul_f64 v[130:131], v[106:107], v[200:201]
	v_fma_f64 v[106:107], v[78:79], v[210:211], -v[64:65]
	v_mul_f64 v[64:65], v[68:69], v[216:217]
	v_mul_f64 v[124:125], v[62:63], v[220:221]
	v_fmac_f64_e32 v[132:133], v[56:57], v[222:223]
	v_mul_f64 v[56:57], v[56:57], v[224:225]
	v_mul_f64 v[136:137], v[54:55], v[228:229]
	v_fmac_f64_e32 v[140:141], v[48:49], v[230:231]
	v_mul_f64 v[48:49], v[48:49], v[232:233]
	v_fmac_f64_e32 v[144:145], v[44:45], v[234:235]
	v_mul_f64 v[44:45], v[44:45], v[236:237]
	v_mul_f64 v[116:117], v[70:71], v[216:217]
	v_fma_f64 v[120:121], v[70:71], v[214:215], -v[64:65]
	v_fmac_f64_e32 v[124:125], v[60:61], v[218:219]
	v_mul_f64 v[60:61], v[60:61], v[220:221]
	v_fma_f64 v[134:135], v[58:59], v[222:223], -v[56:57]
	v_fmac_f64_e32 v[136:137], v[52:53], v[226:227]
	v_mul_f64 v[52:53], v[52:53], v[228:229]
	v_fma_f64 v[142:143], v[50:51], v[230:231], -v[48:49]
	v_fma_f64 v[146:147], v[46:47], v[234:235], -v[44:45]
	v_add_f64 v[44:45], v[40:41], -v[244:245]
	v_add_f64 v[46:47], v[42:43], -v[94:95]
	;; [unrolled: 1-line block ×8, first 2 shown]
	v_fmac_f64_e32 v[130:131], v[104:105], v[198:199]
	v_mul_f64 v[104:105], v[78:79], v[212:213]
	v_fmac_f64_e32 v[116:117], v[68:69], v[214:215]
	v_fma_f64 v[128:129], v[62:63], v[218:219], -v[60:61]
	v_fma_f64 v[138:139], v[54:55], v[226:227], -v[52:53]
	v_fma_f64 v[40:41], v[40:41], 2.0, -v[44:45]
	v_fma_f64 v[52:53], v[240:241], 2.0, -v[48:49]
	;; [unrolled: 1-line block ×6, first 2 shown]
	v_add_f64 v[84:85], v[44:45], v[50:51]
	v_add_f64 v[86:87], v[46:47], -v[48:49]
	v_add_f64 v[94:95], v[56:57], v[66:67]
	v_add_f64 v[108:109], v[58:59], -v[64:65]
	v_fmac_f64_e32 v[104:105], v[76:77], v[210:211]
	v_fma_f64 v[42:43], v[42:43], 2.0, -v[46:47]
	v_fma_f64 v[70:71], v[92:93], 2.0, -v[66:67]
	v_add_f64 v[76:77], v[40:41], -v[52:53]
	v_fma_f64 v[90:91], v[44:45], 2.0, -v[84:85]
	v_fma_f64 v[92:93], v[46:47], 2.0, -v[86:87]
	v_add_f64 v[68:69], v[60:61], -v[68:69]
	;; [unrolled: 3-line block ×3, first 2 shown]
	v_fma_f64 v[52:53], v[40:41], 2.0, -v[76:77]
	v_add_f64 v[70:71], v[62:63], -v[70:71]
	v_fma_f64 v[40:41], v[60:61], 2.0, -v[68:69]
	v_fma_f64 v[44:45], s[10:11], v[56:57], v[90:91]
	v_fma_f64 v[46:47], s[10:11], v[58:59], v[92:93]
	;; [unrolled: 1-line block ×3, first 2 shown]
	v_fma_f64 v[54:55], v[42:43], 2.0, -v[78:79]
	v_fma_f64 v[42:43], v[62:63], 2.0, -v[70:71]
	v_add_f64 v[40:41], v[52:53], -v[40:41]
	v_fmac_f64_e32 v[44:45], s[12:13], v[58:59]
	v_fmac_f64_e32 v[46:47], s[10:11], v[56:57]
	v_add_f64 v[56:57], v[76:77], v[70:71]
	v_add_f64 v[58:59], v[78:79], -v[68:69]
	v_fma_f64 v[66:67], s[12:13], v[108:109], v[86:87]
	v_fmac_f64_e32 v[64:65], s[12:13], v[108:109]
	v_add_f64 v[74:75], v[96:97], -v[74:75]
	v_add_f64 v[42:43], v[54:55], -v[42:43]
	v_fma_f64 v[48:49], v[52:53], 2.0, -v[40:41]
	v_fma_f64 v[52:53], v[90:91], 2.0, -v[44:45]
	;; [unrolled: 1-line block ×4, first 2 shown]
	v_fmac_f64_e32 v[66:67], s[10:11], v[94:95]
	v_fma_f64 v[68:69], v[84:85], 2.0, -v[64:65]
	v_add_f64 v[76:77], v[36:37], -v[126:127]
	v_add_f64 v[72:73], v[38:39], -v[72:73]
	;; [unrolled: 1-line block ×5, first 2 shown]
	v_fma_f64 v[94:95], v[96:97], 2.0, -v[74:75]
	v_add_f64 v[96:97], v[122:123], -v[102:103]
	v_add_f64 v[88:89], v[82:83], -v[88:89]
	v_fma_f64 v[50:51], v[54:55], 2.0, -v[42:43]
	v_fma_f64 v[54:55], v[92:93], 2.0, -v[46:47]
	;; [unrolled: 1-line block ×10, first 2 shown]
	v_add_f64 v[108:109], v[76:77], v[84:85]
	v_add_f64 v[118:119], v[90:91], v[88:89]
	v_add_f64 v[100:101], v[36:37], -v[86:87]
	v_add_f64 v[102:103], v[38:39], -v[80:81]
	;; [unrolled: 1-line block ×3, first 2 shown]
	v_fma_f64 v[84:85], v[76:77], 2.0, -v[108:109]
	v_add_f64 v[98:99], v[92:93], -v[98:99]
	v_add_f64 v[114:115], v[94:95], -v[82:83]
	;; [unrolled: 1-line block ×3, first 2 shown]
	v_fma_f64 v[82:83], v[90:91], 2.0, -v[118:119]
	v_fma_f64 v[80:81], v[36:37], 2.0, -v[100:101]
	;; [unrolled: 1-line block ×7, first 2 shown]
	v_fma_f64 v[76:77], s[10:11], v[82:83], v[84:85]
	v_fma_f64 v[92:93], s[12:13], v[118:119], v[108:109]
	;; [unrolled: 1-line block ×3, first 2 shown]
	v_add_f64 v[36:37], v[80:81], -v[36:37]
	v_add_f64 v[38:39], v[86:87], -v[38:39]
	v_fma_f64 v[78:79], s[10:11], v[88:89], v[112:113]
	v_fmac_f64_e32 v[76:77], s[12:13], v[88:89]
	v_fmac_f64_e32 v[92:93], s[12:13], v[96:97]
	;; [unrolled: 1-line block ×3, first 2 shown]
	v_fma_f64 v[72:73], v[80:81], 2.0, -v[36:37]
	v_fma_f64 v[74:75], v[86:87], 2.0, -v[38:39]
	v_fmac_f64_e32 v[78:79], s[10:11], v[82:83]
	v_fma_f64 v[80:81], v[84:85], 2.0, -v[76:77]
	v_add_f64 v[84:85], v[100:101], v[114:115]
	v_add_f64 v[86:87], v[102:103], -v[98:99]
	v_fma_f64 v[96:97], v[108:109], 2.0, -v[92:93]
	v_fma_f64 v[98:99], v[110:111], 2.0, -v[94:95]
	v_add_f64 v[108:109], v[116:117], -v[140:141]
	v_add_f64 v[110:111], v[120:121], -v[142:143]
	v_fma_f64 v[82:83], v[112:113], 2.0, -v[78:79]
	v_fma_f64 v[88:89], v[100:101], 2.0, -v[84:85]
	v_add_f64 v[100:101], v[32:33], -v[132:133]
	v_fma_f64 v[112:113], v[116:117], 2.0, -v[108:109]
	v_fma_f64 v[114:115], v[120:121], 2.0, -v[110:111]
	v_add_f64 v[116:117], v[104:105], -v[136:137]
	v_add_f64 v[120:121], v[124:125], -v[144:145]
	v_fma_f64 v[32:33], v[32:33], 2.0, -v[100:101]
	v_fma_f64 v[104:105], v[104:105], 2.0, -v[116:117]
	v_add_f64 v[122:123], v[128:129], -v[146:147]
	v_fma_f64 v[124:125], v[124:125], 2.0, -v[120:121]
	v_fma_f64 v[90:91], v[102:103], 2.0, -v[86:87]
	v_add_f64 v[102:103], v[34:35], -v[134:135]
	v_add_f64 v[118:119], v[106:107], -v[138:139]
	v_fma_f64 v[126:127], v[128:129], 2.0, -v[122:123]
	v_add_f64 v[128:129], v[32:33], -v[112:113]
	v_add_f64 v[124:125], v[104:105], -v[124:125]
	v_fma_f64 v[34:35], v[34:35], 2.0, -v[102:103]
	v_fma_f64 v[106:107], v[106:107], 2.0, -v[118:119]
	v_fma_f64 v[112:113], v[32:33], 2.0, -v[128:129]
	v_add_f64 v[134:135], v[102:103], -v[108:109]
	v_fma_f64 v[32:33], v[104:105], 2.0, -v[124:125]
	v_add_f64 v[138:139], v[118:119], -v[120:121]
	v_add_f64 v[130:131], v[34:35], -v[114:115]
	v_add_f64 v[132:133], v[100:101], v[110:111]
	v_fma_f64 v[110:111], v[102:103], 2.0, -v[134:135]
	v_add_f64 v[126:127], v[106:107], -v[126:127]
	v_add_f64 v[136:137], v[116:117], v[122:123]
	v_fma_f64 v[118:119], v[118:119], 2.0, -v[138:139]
	v_add_f64 v[32:33], v[112:113], -v[32:33]
	v_fma_f64 v[114:115], v[34:35], 2.0, -v[130:131]
	v_fma_f64 v[108:109], v[100:101], 2.0, -v[132:133]
	v_fma_f64 v[34:35], v[106:107], 2.0, -v[126:127]
	v_fma_f64 v[116:117], v[116:117], 2.0, -v[136:137]
	v_fma_f64 v[100:101], v[112:113], 2.0, -v[32:33]
	v_fma_f64 v[106:107], s[10:11], v[118:119], v[110:111]
	v_add_f64 v[112:113], v[128:129], v[126:127]
	v_fma_f64 v[104:105], s[10:11], v[116:117], v[108:109]
	v_fmac_f64_e32 v[106:107], s[10:11], v[116:117]
	v_fma_f64 v[116:117], v[128:129], 2.0, -v[112:113]
	v_mov_b32_e32 v128, 0x50
	v_cndmask_b32_e64 v128, 0, v128, s[2:3]
	v_or_b32_e32 v128, v128, v187
	v_lshlrev_b32_e32 v128, 4, v128
	v_add3_u32 v128, 0, v128, v179
	ds_write_b128 v128, v[48:51]
	ds_write_b128 v128, v[52:55] offset:160
	ds_write_b128 v128, v[60:63] offset:320
	;; [unrolled: 1-line block ×7, first 2 shown]
	v_mul_lo_u16_e32 v40, 0x50, v188
	v_or_b32_e32 v40, v40, v189
	v_lshlrev_b32_sdwa v40, v182, v40 dst_sel:DWORD dst_unused:UNUSED_PAD src0_sel:DWORD src1_sel:BYTE_0
	v_add3_u32 v40, 0, v40, v179
	ds_write_b128 v40, v[72:75]
	ds_write_b128 v40, v[80:83] offset:160
	ds_write_b128 v40, v[88:91] offset:320
	;; [unrolled: 1-line block ×7, first 2 shown]
	v_mul_u32_u24_e32 v36, 0x50, v191
	v_or_b32_sdwa v36, v36, v192 dst_sel:DWORD dst_unused:UNUSED_PAD src0_sel:DWORD src1_sel:BYTE_0
	v_add_f64 v[34:35], v[114:115], -v[34:35]
	v_fma_f64 v[120:121], s[12:13], v[136:137], v[132:133]
	v_fma_f64 v[122:123], s[12:13], v[138:139], v[134:135]
	v_lshlrev_b32_e32 v36, 4, v36
	v_fma_f64 v[102:103], v[114:115], 2.0, -v[34:35]
	v_fmac_f64_e32 v[104:105], s[12:13], v[118:119]
	v_add_f64 v[114:115], v[130:131], -v[124:125]
	v_fmac_f64_e32 v[120:121], s[12:13], v[138:139]
	v_fmac_f64_e32 v[122:123], s[10:11], v[136:137]
	v_add3_u32 v36, 0, v36, v179
	v_fma_f64 v[108:109], v[108:109], 2.0, -v[104:105]
	v_fma_f64 v[110:111], v[110:111], 2.0, -v[106:107]
	;; [unrolled: 1-line block ×5, first 2 shown]
	ds_write_b128 v36, v[100:103]
	ds_write_b128 v36, v[108:111] offset:160
	ds_write_b128 v36, v[116:119] offset:320
	;; [unrolled: 1-line block ×7, first 2 shown]
	s_and_saveexec_b64 s[2:3], s[0:1]
	s_cbranch_execz .LBB0_17
; %bb.16:
	v_mul_lo_u16_sdwa v32, v176, s14 dst_sel:DWORD dst_unused:UNUSED_PAD src0_sel:BYTE_0 src1_sel:DWORD
	v_lshrrev_b16_e32 v60, 11, v32
	v_mul_lo_u16_e32 v32, 10, v60
	v_sub_u16_e32 v74, v176, v32
	v_mul_u32_u24_sdwa v32, v74, v190 dst_sel:DWORD dst_unused:UNUSED_PAD src0_sel:BYTE_0 src1_sel:DWORD
	v_lshlrev_b32_e32 v61, 4, v32
	global_load_dwordx4 v[32:35], v61, s[8:9] offset:48
	global_load_dwordx4 v[36:39], v61, s[8:9] offset:16
	;; [unrolled: 1-line block ×3, first 2 shown]
	global_load_dwordx4 v[44:47], v61, s[8:9]
	global_load_dwordx4 v[48:51], v61, s[8:9] offset:64
	global_load_dwordx4 v[52:55], v61, s[8:9] offset:32
	;; [unrolled: 1-line block ×3, first 2 shown]
	v_mul_u32_u24_e32 v75, 0x50, v60
	s_waitcnt vmcnt(6)
	v_mul_f64 v[60:61], v[16:17], v[34:35]
	s_waitcnt vmcnt(5)
	v_mul_f64 v[62:63], v[10:11], v[38:39]
	;; [unrolled: 2-line block ×7, first 2 shown]
	v_mul_f64 v[46:47], v[6:7], v[46:47]
	v_mul_f64 v[50:51], v[22:23], v[50:51]
	;; [unrolled: 1-line block ×7, first 2 shown]
	v_fmac_f64_e32 v[70:71], v[12:13], v[52:53]
	v_fmac_f64_e32 v[46:47], v[4:5], v[44:45]
	;; [unrolled: 1-line block ×3, first 2 shown]
	v_fma_f64 v[4:5], v[14:15], v[52:53], -v[54:55]
	v_fma_f64 v[12:13], v[30:31], v[56:57], -v[58:59]
	v_fmac_f64_e32 v[34:35], v[16:17], v[32:33]
	v_fma_f64 v[10:11], v[10:11], v[36:37], -v[38:39]
	v_fma_f64 v[14:15], v[26:27], v[40:41], -v[42:43]
	;; [unrolled: 1-line block ×3, first 2 shown]
	v_fmac_f64_e32 v[62:63], v[8:9], v[36:37]
	v_fmac_f64_e32 v[64:65], v[24:25], v[40:41]
	v_fma_f64 v[6:7], v[6:7], v[44:45], -v[66:67]
	v_fma_f64 v[8:9], v[22:23], v[48:49], -v[68:69]
	v_fmac_f64_e32 v[72:73], v[28:29], v[56:57]
	v_add_f64 v[22:23], v[46:47], -v[50:51]
	v_add_f64 v[12:13], v[4:5], -v[12:13]
	;; [unrolled: 1-line block ×8, first 2 shown]
	v_add_f64 v[30:31], v[22:23], v[12:13]
	v_add_f64 v[32:33], v[24:25], v[14:15]
	v_add_f64 v[26:27], v[16:17], -v[18:19]
	v_add_f64 v[28:29], v[8:9], -v[20:21]
	v_fma_f64 v[34:35], v[2:3], 2.0, -v[16:17]
	v_fma_f64 v[10:11], v[10:11], 2.0, -v[14:15]
	;; [unrolled: 1-line block ×8, first 2 shown]
	v_fma_f64 v[0:1], s[12:13], v[30:31], v[32:33]
	v_fma_f64 v[2:3], s[12:13], v[28:29], v[26:27]
	v_add_f64 v[40:41], v[34:35], -v[10:11]
	v_add_f64 v[12:13], v[14:15], -v[20:21]
	;; [unrolled: 1-line block ×4, first 2 shown]
	v_fma_f64 v[42:43], v[16:17], 2.0, -v[26:27]
	v_fma_f64 v[44:45], v[8:9], 2.0, -v[28:29]
	v_fmac_f64_e32 v[0:1], s[12:13], v[28:29]
	v_fma_f64 v[22:23], v[22:23], 2.0, -v[30:31]
	v_fma_f64 v[24:25], v[24:25], 2.0, -v[32:33]
	v_fmac_f64_e32 v[2:3], s[10:11], v[30:31]
	v_add_f64 v[6:7], v[40:41], -v[12:13]
	v_add_f64 v[4:5], v[20:21], v[18:19]
	v_fma_f64 v[10:11], s[10:11], v[44:45], v[42:43]
	v_fma_f64 v[28:29], v[34:35], 2.0, -v[40:41]
	v_fma_f64 v[30:31], v[38:39], 2.0, -v[18:19]
	;; [unrolled: 1-line block ×5, first 2 shown]
	v_or_b32_sdwa v32, v75, v74 dst_sel:DWORD dst_unused:UNUSED_PAD src0_sel:DWORD src1_sel:BYTE_0
	v_fma_f64 v[8:9], s[10:11], v[22:23], v[24:25]
	v_fma_f64 v[16:17], v[20:21], 2.0, -v[4:5]
	v_fmac_f64_e32 v[10:11], s[10:11], v[22:23]
	v_add_f64 v[22:23], v[28:29], -v[30:31]
	v_add_f64 v[20:21], v[34:35], -v[36:37]
	v_lshlrev_b32_e32 v32, 4, v32
	v_fmac_f64_e32 v[8:9], s[12:13], v[44:45]
	v_fma_f64 v[30:31], v[28:29], 2.0, -v[22:23]
	v_fma_f64 v[28:29], v[34:35], 2.0, -v[20:21]
	v_add3_u32 v32, 0, v32, v179
	v_fma_f64 v[14:15], v[26:27], 2.0, -v[2:3]
	v_fma_f64 v[18:19], v[40:41], 2.0, -v[6:7]
	;; [unrolled: 1-line block ×4, first 2 shown]
	ds_write_b128 v32, v[28:31]
	ds_write_b128 v32, v[24:27] offset:160
	ds_write_b128 v32, v[16:19] offset:320
	;; [unrolled: 1-line block ×7, first 2 shown]
.LBB0_17:
	s_or_b64 exec, exec, s[2:3]
	v_mul_u32_u24_e32 v0, 5, v178
	v_lshlrev_b32_e32 v0, 4, v0
	s_waitcnt lgkmcnt(0)
	; wave barrier
	s_waitcnt lgkmcnt(0)
	global_load_dwordx4 v[36:39], v0, s[8:9] offset:1120
	global_load_dwordx4 v[32:35], v0, s[8:9] offset:1136
	;; [unrolled: 1-line block ×5, first 2 shown]
	v_mul_i32_i24_e32 v182, 5, v174
	v_lshl_add_u64 v[0:1], v[182:183], 4, s[8:9]
	global_load_dwordx4 v[72:75], v[0:1], off offset:1120
	global_load_dwordx4 v[52:55], v[0:1], off offset:1152
	;; [unrolled: 1-line block ×3, first 2 shown]
	ds_read_b128 v[112:115], v177 offset:1280
	ds_read_b128 v[76:79], v177 offset:1536
	ds_read_b128 v[108:111], v177 offset:3840
	ds_read_b128 v[60:63], v177 offset:4096
	ds_read_b128 v[84:87], v177 offset:6400
	ds_read_b128 v[48:51], v177 offset:6656
	global_load_dwordx4 v[56:59], v[0:1], off offset:1168
	v_mul_i32_i24_e32 v182, 5, v180
	ds_read_b128 v[80:83], v177 offset:2816
	ds_read_b128 v[44:47], v177 offset:3072
	;; [unrolled: 1-line block ×4, first 2 shown]
	global_load_dwordx4 v[88:91], v[0:1], off offset:1184
	v_lshl_add_u64 v[4:5], v[182:183], 4, s[8:9]
	global_load_dwordx4 v[116:119], v[4:5], off offset:1136
	global_load_dwordx4 v[136:139], v[4:5], off offset:1120
	ds_read_b128 v[140:143], v177 offset:1792
	ds_read_b128 v[104:107], v177 offset:2048
	;; [unrolled: 1-line block ×4, first 2 shown]
	global_load_dwordx4 v[124:127], v[4:5], off offset:1168
	global_load_dwordx4 v[132:135], v[4:5], off offset:1152
	v_mul_i32_i24_e32 v182, 5, v176
	ds_read_b128 v[120:123], v177 offset:6912
	ds_read_b128 v[92:95], v177 offset:7168
	ds_read_b128 v[12:15], v171
	ds_read_b128 v[0:3], v177 offset:1024
	ds_read_b128 v[146:149], v177 offset:2560
	;; [unrolled: 1-line block ×3, first 2 shown]
	global_load_dwordx4 v[150:153], v[4:5], off offset:1184
	v_lshl_add_u64 v[166:167], v[182:183], 4, s[8:9]
	ds_read_b128 v[154:157], v177 offset:3328
	ds_read_b128 v[158:161], v177 offset:3584
	global_load_dwordx4 v[162:165], v[166:167], off offset:1120
	ds_read_b128 v[188:191], v177 offset:5120
	ds_read_b128 v[192:195], v177 offset:4864
	global_load_dwordx4 v[196:199], v[166:167], off offset:1152
	global_load_dwordx4 v[200:203], v[166:167], off offset:1136
	v_or_b32_e32 v145, 64, v178
	v_add3_u32 v144, 0, v181, v179
	ds_read_b128 v[204:207], v177 offset:5888
	ds_read_b128 v[208:211], v177 offset:6144
	ds_read_b128 v[16:19], v186
	ds_read_b128 v[212:215], v177 offset:7424
	ds_read_b128 v[8:11], v185
	ds_read_b128 v[4:7], v144
	v_mul_u32_u24_e32 v145, 5, v145
	global_load_dwordx4 v[216:219], v[166:167], off offset:1168
	v_lshlrev_b32_e32 v145, 4, v145
	global_load_dwordx4 v[220:223], v145, s[8:9] offset:1168
	global_load_dwordx4 v[224:227], v145, s[8:9] offset:1152
	global_load_dwordx4 v[228:231], v[166:167], off offset:1184
	global_load_dwordx4 v[232:235], v145, s[8:9] offset:1136
	global_load_dwordx4 v[236:239], v145, s[8:9] offset:1120
	s_mov_b32 s2, 0xe8584caa
	s_mov_b32 s3, 0xbfebb67a
	;; [unrolled: 1-line block ×4, first 2 shown]
	s_waitcnt vmcnt(23) lgkmcnt(14)
	v_mul_f64 v[166:167], v[114:115], v[38:39]
	s_waitcnt vmcnt(22) lgkmcnt(11)
	v_mul_f64 v[182:183], v[148:149], v[34:35]
	s_waitcnt vmcnt(21)
	v_mul_f64 v[240:241], v[110:111], v[30:31]
	v_mul_f64 v[30:31], v[108:109], v[30:31]
	s_waitcnt vmcnt(20) lgkmcnt(7)
	v_mul_f64 v[242:243], v[190:191], v[26:27]
	v_mul_f64 v[26:27], v[188:189], v[26:27]
	v_fmac_f64_e32 v[240:241], v[108:109], v[28:29]
	v_fma_f64 v[28:29], v[110:111], v[28:29], -v[30:31]
	v_fmac_f64_e32 v[242:243], v[188:189], v[24:25]
	v_fma_f64 v[30:31], v[190:191], v[24:25], -v[26:27]
	global_load_dwordx4 v[24:27], v145, s[8:9] offset:1184
	v_mul_f64 v[34:35], v[146:147], v[34:35]
	v_fmac_f64_e32 v[182:183], v[146:147], v[32:33]
	v_fma_f64 v[32:33], v[148:149], v[32:33], -v[34:35]
	s_waitcnt vmcnt(20)
	v_mul_f64 v[34:35], v[86:87], v[22:23]
	v_mul_f64 v[22:23], v[84:85], v[22:23]
	v_fmac_f64_e32 v[34:35], v[84:85], v[20:21]
	v_fma_f64 v[20:21], v[86:87], v[20:21], -v[22:23]
	s_waitcnt vmcnt(19)
	v_mul_f64 v[22:23], v[76:77], v[74:75]
	v_mul_f64 v[146:147], v[78:79], v[74:75]
	v_fma_f64 v[74:75], v[78:79], v[72:73], -v[22:23]
	s_waitcnt vmcnt(17)
	v_mul_f64 v[22:23], v[80:81], v[66:67]
	v_fmac_f64_e32 v[146:147], v[76:77], v[72:73]
	v_mul_f64 v[76:77], v[82:83], v[66:67]
	v_fma_f64 v[66:67], v[82:83], v[64:65], -v[22:23]
	v_mul_f64 v[78:79], v[62:63], v[54:55]
	v_mul_f64 v[22:23], v[60:61], v[54:55]
	v_fmac_f64_e32 v[78:79], v[60:61], v[52:53]
	v_fma_f64 v[52:53], v[62:63], v[52:53], -v[22:23]
	s_waitcnt vmcnt(16)
	v_mul_f64 v[54:55], v[70:71], v[58:59]
	v_mul_f64 v[22:23], v[68:69], v[58:59]
	v_fmac_f64_e32 v[54:55], v[68:69], v[56:57]
	v_fma_f64 v[56:57], v[70:71], v[56:57], -v[22:23]
	s_waitcnt vmcnt(15)
	;; [unrolled: 5-line block ×3, first 2 shown]
	v_mul_f64 v[22:23], v[140:141], v[138:139]
	v_mul_f64 v[70:71], v[142:143], v[138:139]
	v_fma_f64 v[72:73], v[142:143], v[136:137], -v[22:23]
	v_mul_f64 v[22:23], v[44:45], v[118:119]
	v_fmac_f64_e32 v[70:71], v[140:141], v[136:137]
	v_fma_f64 v[136:137], v[46:47], v[116:117], -v[22:23]
	s_waitcnt vmcnt(11)
	v_mul_f64 v[60:61], v[130:131], v[134:135]
	v_mul_f64 v[22:23], v[128:129], v[134:135]
	v_fmac_f64_e32 v[60:61], v[128:129], v[132:133]
	v_fma_f64 v[62:63], v[130:131], v[132:133], -v[22:23]
	v_mul_f64 v[128:129], v[42:43], v[126:127]
	v_mul_f64 v[22:23], v[40:41], v[126:127]
	v_fmac_f64_e32 v[76:77], v[80:81], v[64:65]
	v_fmac_f64_e32 v[128:129], v[40:41], v[124:125]
	v_fma_f64 v[124:125], v[42:43], v[124:125], -v[22:23]
	s_waitcnt vmcnt(10)
	v_mul_f64 v[64:65], v[122:123], v[152:153]
	v_mul_f64 v[22:23], v[120:121], v[152:153]
	v_fmac_f64_e32 v[64:65], v[120:121], v[150:151]
	v_fma_f64 v[120:121], v[122:123], v[150:151], -v[22:23]
	s_waitcnt vmcnt(9)
	v_mul_f64 v[108:109], v[106:107], v[164:165]
	v_mul_f64 v[22:23], v[104:105], v[164:165]
	;; [unrolled: 1-line block ×3, first 2 shown]
	v_fmac_f64_e32 v[108:109], v[104:105], v[162:163]
	v_fma_f64 v[104:105], v[106:107], v[162:163], -v[22:23]
	s_waitcnt vmcnt(7)
	v_mul_f64 v[22:23], v[154:155], v[202:203]
	v_fmac_f64_e32 v[166:167], v[112:113], v[36:37]
	v_fma_f64 v[36:37], v[114:115], v[36:37], -v[38:39]
	v_fma_f64 v[114:115], v[156:157], v[200:201], -v[22:23]
	v_mul_f64 v[106:107], v[102:103], v[198:199]
	v_mul_f64 v[22:23], v[100:101], v[198:199]
	v_fmac_f64_e32 v[106:107], v[100:101], v[196:197]
	v_fma_f64 v[100:101], v[102:103], v[196:197], -v[22:23]
	s_waitcnt vmcnt(6) lgkmcnt(5)
	v_mul_f64 v[22:23], v[204:205], v[218:219]
	v_mul_f64 v[68:69], v[46:47], v[118:119]
	v_fma_f64 v[118:119], v[206:207], v[216:217], -v[22:23]
	s_waitcnt vmcnt(3)
	v_mul_f64 v[22:23], v[92:93], v[230:231]
	v_fma_f64 v[112:113], v[94:95], v[228:229], -v[22:23]
	s_waitcnt vmcnt(1)
	v_mul_f64 v[22:23], v[96:97], v[238:239]
	v_mul_f64 v[102:103], v[94:95], v[230:231]
	v_fma_f64 v[82:83], v[98:99], v[236:237], -v[22:23]
	v_mul_f64 v[22:23], v[158:159], v[234:235]
	v_fmac_f64_e32 v[102:103], v[92:93], v[228:229]
	v_fma_f64 v[92:93], v[160:161], v[232:233], -v[22:23]
	v_mul_f64 v[22:23], v[192:193], v[226:227]
	v_fma_f64 v[86:87], v[194:195], v[224:225], -v[22:23]
	s_waitcnt lgkmcnt(4)
	v_mul_f64 v[22:23], v[208:209], v[222:223]
	v_mul_f64 v[80:81], v[98:99], v[238:239]
	v_fma_f64 v[98:99], v[210:211], v[220:221], -v[22:23]
	v_fmac_f64_e32 v[80:81], v[96:97], v[236:237]
	v_fmac_f64_e32 v[68:69], v[44:45], v[116:117]
	v_mul_f64 v[110:111], v[156:157], v[202:203]
	v_mul_f64 v[116:117], v[206:207], v[218:219]
	v_fmac_f64_e32 v[110:111], v[154:155], v[200:201]
	s_waitcnt vmcnt(0) lgkmcnt(2)
	v_mul_f64 v[22:23], v[212:213], v[26:27]
	v_fma_f64 v[96:97], v[214:215], v[24:25], -v[22:23]
	v_add_f64 v[22:23], v[12:13], v[182:183]
	v_add_f64 v[38:39], v[22:23], v[242:243]
	;; [unrolled: 1-line block ×3, first 2 shown]
	v_fmac_f64_e32 v[12:13], -0.5, v[22:23]
	v_add_f64 v[22:23], v[32:33], -v[30:31]
	v_fma_f64 v[40:41], s[2:3], v[22:23], v[12:13]
	v_fmac_f64_e32 v[12:13], s[0:1], v[22:23]
	v_add_f64 v[22:23], v[14:15], v[32:33]
	v_add_f64 v[42:43], v[22:23], v[30:31]
	;; [unrolled: 1-line block ×3, first 2 shown]
	v_fmac_f64_e32 v[14:15], -0.5, v[22:23]
	v_add_f64 v[22:23], v[182:183], -v[242:243]
	v_fma_f64 v[44:45], s[0:1], v[22:23], v[14:15]
	v_fmac_f64_e32 v[14:15], s[2:3], v[22:23]
	v_add_f64 v[22:23], v[166:167], v[240:241]
	v_add_f64 v[32:33], v[22:23], v[34:35]
	;; [unrolled: 1-line block ×3, first 2 shown]
	v_fmac_f64_e32 v[166:167], -0.5, v[22:23]
	v_add_f64 v[22:23], v[28:29], -v[20:21]
	v_mul_f64 v[90:91], v[214:215], v[26:27]
	v_fma_f64 v[26:27], s[2:3], v[22:23], v[166:167]
	v_fmac_f64_e32 v[166:167], s[0:1], v[22:23]
	v_add_f64 v[22:23], v[36:37], v[28:29]
	v_add_f64 v[46:47], v[22:23], v[20:21]
	;; [unrolled: 1-line block ×3, first 2 shown]
	v_fmac_f64_e32 v[36:37], -0.5, v[20:21]
	v_add_f64 v[20:21], v[240:241], -v[34:35]
	v_fma_f64 v[30:31], s[0:1], v[20:21], v[36:37]
	v_mul_f64 v[34:35], v[30:31], s[2:3]
	v_fmac_f64_e32 v[36:37], s[2:3], v[20:21]
	v_fmac_f64_e32 v[34:35], 0.5, v[26:27]
	v_mul_f64 v[122:123], v[30:31], 0.5
	v_fmac_f64_e32 v[90:91], v[212:213], v[24:25]
	v_add_f64 v[20:21], v[38:39], v[32:33]
	v_add_f64 v[24:25], v[40:41], v[34:35]
	v_mul_f64 v[50:51], v[36:37], s[2:3]
	v_fmac_f64_e32 v[122:123], s[0:1], v[26:27]
	v_mul_f64 v[126:127], v[36:37], -0.5
	v_add_f64 v[36:37], v[38:39], -v[32:33]
	v_add_f64 v[32:33], v[40:41], -v[34:35]
	v_add_f64 v[40:41], v[16:17], v[76:77]
	v_add_f64 v[26:27], v[44:45], v[122:123]
	v_add_f64 v[34:35], v[44:45], -v[122:123]
	v_add_f64 v[122:123], v[40:41], v[54:55]
	v_add_f64 v[40:41], v[76:77], v[54:55]
	v_fmac_f64_e32 v[126:127], s[0:1], v[166:167]
	v_fmac_f64_e32 v[16:17], -0.5, v[40:41]
	v_add_f64 v[40:41], v[66:67], -v[56:57]
	v_add_f64 v[30:31], v[14:15], v[126:127]
	v_add_f64 v[14:15], v[14:15], -v[126:127]
	v_fma_f64 v[126:127], s[2:3], v[40:41], v[16:17]
	v_fmac_f64_e32 v[16:17], s[0:1], v[40:41]
	v_add_f64 v[40:41], v[18:19], v[66:67]
	v_add_f64 v[130:131], v[40:41], v[56:57]
	;; [unrolled: 1-line block ×3, first 2 shown]
	v_fmac_f64_e32 v[18:19], -0.5, v[40:41]
	v_add_f64 v[40:41], v[76:77], -v[54:55]
	v_fma_f64 v[54:55], s[0:1], v[40:41], v[18:19]
	v_fmac_f64_e32 v[18:19], s[2:3], v[40:41]
	v_add_f64 v[40:41], v[146:147], v[78:79]
	v_add_f64 v[56:57], v[40:41], v[58:59]
	v_add_f64 v[40:41], v[78:79], v[58:59]
	v_fmac_f64_e32 v[146:147], -0.5, v[40:41]
	v_add_f64 v[40:41], v[52:53], -v[48:49]
	v_add_f64 v[22:23], v[42:43], v[46:47]
	v_add_f64 v[38:39], v[42:43], -v[46:47]
	v_fma_f64 v[46:47], s[2:3], v[40:41], v[146:147]
	v_fmac_f64_e32 v[146:147], s[0:1], v[40:41]
	v_add_f64 v[40:41], v[74:75], v[52:53]
	v_add_f64 v[66:67], v[40:41], v[48:49]
	;; [unrolled: 1-line block ×3, first 2 shown]
	v_fmac_f64_e32 v[50:51], -0.5, v[166:167]
	v_fmac_f64_e32 v[74:75], -0.5, v[40:41]
	v_add_f64 v[40:41], v[78:79], -v[58:59]
	v_add_f64 v[28:29], v[12:13], v[50:51]
	v_add_f64 v[12:13], v[12:13], -v[50:51]
	v_fma_f64 v[50:51], s[0:1], v[40:41], v[74:75]
	v_fmac_f64_e32 v[74:75], s[2:3], v[40:41]
	v_mul_f64 v[58:59], v[74:75], s[2:3]
	v_fmac_f64_e32 v[58:59], -0.5, v[146:147]
	v_mul_f64 v[74:75], v[74:75], -0.5
	v_add_f64 v[48:49], v[16:17], v[58:59]
	v_add_f64 v[42:43], v[130:131], v[66:67]
	v_fmac_f64_e32 v[74:75], s[0:1], v[146:147]
	v_add_f64 v[16:17], v[16:17], -v[58:59]
	v_add_f64 v[58:59], v[130:131], -v[66:67]
	s_waitcnt lgkmcnt(1)
	v_add_f64 v[66:67], v[8:9], v[68:69]
	v_mul_f64 v[52:53], v[50:51], s[2:3]
	v_mul_f64 v[76:77], v[50:51], 0.5
	v_add_f64 v[50:51], v[18:19], v[74:75]
	v_add_f64 v[18:19], v[18:19], -v[74:75]
	v_add_f64 v[74:75], v[66:67], v[128:129]
	v_add_f64 v[66:67], v[68:69], v[128:129]
	v_fmac_f64_e32 v[8:9], -0.5, v[66:67]
	v_add_f64 v[66:67], v[136:137], -v[124:125]
	v_fma_f64 v[78:79], s[2:3], v[66:67], v[8:9]
	v_fmac_f64_e32 v[8:9], s[0:1], v[66:67]
	v_add_f64 v[66:67], v[10:11], v[136:137]
	v_add_f64 v[40:41], v[122:123], v[56:57]
	v_add_f64 v[56:57], v[122:123], -v[56:57]
	v_add_f64 v[122:123], v[66:67], v[124:125]
	v_add_f64 v[66:67], v[136:137], v[124:125]
	v_fmac_f64_e32 v[10:11], -0.5, v[66:67]
	v_add_f64 v[66:67], v[68:69], -v[128:129]
	v_fmac_f64_e32 v[76:77], s[0:1], v[46:47]
	v_fma_f64 v[124:125], s[0:1], v[66:67], v[10:11]
	v_fmac_f64_e32 v[10:11], s[2:3], v[66:67]
	v_add_f64 v[66:67], v[70:71], v[60:61]
	v_fmac_f64_e32 v[52:53], 0.5, v[46:47]
	v_add_f64 v[46:47], v[54:55], v[76:77]
	v_add_f64 v[54:55], v[54:55], -v[76:77]
	v_add_f64 v[76:77], v[66:67], v[64:65]
	v_add_f64 v[66:67], v[60:61], v[64:65]
	v_fmac_f64_e32 v[70:71], -0.5, v[66:67]
	v_add_f64 v[66:67], v[62:63], -v[120:121]
	v_add_f64 v[44:45], v[126:127], v[52:53]
	v_add_f64 v[52:53], v[126:127], -v[52:53]
	v_fma_f64 v[126:127], s[2:3], v[66:67], v[70:71]
	v_fmac_f64_e32 v[70:71], s[0:1], v[66:67]
	v_add_f64 v[66:67], v[72:73], v[62:63]
	v_add_f64 v[62:63], v[62:63], v[120:121]
	v_fmac_f64_e32 v[72:73], -0.5, v[62:63]
	v_add_f64 v[60:61], v[60:61], -v[64:65]
	v_add_f64 v[128:129], v[66:67], v[120:121]
	v_fma_f64 v[66:67], s[0:1], v[60:61], v[72:73]
	v_mul_f64 v[120:121], v[66:67], s[2:3]
	v_fmac_f64_e32 v[116:117], v[204:205], v[216:217]
	v_fmac_f64_e32 v[72:73], s[2:3], v[60:61]
	v_fmac_f64_e32 v[120:121], 0.5, v[126:127]
	v_mul_f64 v[132:133], v[66:67], 0.5
	v_add_f64 v[64:65], v[78:79], v[120:121]
	v_mul_f64 v[130:131], v[72:73], s[2:3]
	v_add_f64 v[62:63], v[122:123], v[128:129]
	v_fmac_f64_e32 v[132:133], s[0:1], v[126:127]
	v_mul_f64 v[126:127], v[72:73], -0.5
	v_add_f64 v[72:73], v[78:79], -v[120:121]
	v_add_f64 v[78:79], v[122:123], -v[128:129]
	v_add_f64 v[122:123], v[110:111], v[116:117]
	s_waitcnt lgkmcnt(0)
	v_add_f64 v[120:121], v[4:5], v[110:111]
	v_fmac_f64_e32 v[4:5], -0.5, v[122:123]
	v_add_f64 v[122:123], v[114:115], -v[118:119]
	v_add_f64 v[60:61], v[74:75], v[76:77]
	v_add_f64 v[66:67], v[124:125], v[132:133]
	v_add_f64 v[76:77], v[74:75], -v[76:77]
	v_add_f64 v[74:75], v[124:125], -v[132:133]
	v_fma_f64 v[124:125], s[2:3], v[122:123], v[4:5]
	v_fmac_f64_e32 v[4:5], s[0:1], v[122:123]
	v_add_f64 v[122:123], v[6:7], v[114:115]
	v_add_f64 v[114:115], v[114:115], v[118:119]
	v_fmac_f64_e32 v[126:127], s[0:1], v[70:71]
	v_fmac_f64_e32 v[6:7], -0.5, v[114:115]
	v_add_f64 v[110:111], v[110:111], -v[116:117]
	v_fmac_f64_e32 v[130:131], -0.5, v[70:71]
	v_add_f64 v[70:71], v[10:11], v[126:127]
	v_add_f64 v[10:11], v[10:11], -v[126:127]
	v_fma_f64 v[126:127], s[0:1], v[110:111], v[6:7]
	v_fmac_f64_e32 v[6:7], s[2:3], v[110:111]
	v_add_f64 v[110:111], v[108:109], v[106:107]
	v_add_f64 v[114:115], v[110:111], v[102:103]
	;; [unrolled: 1-line block ×3, first 2 shown]
	v_fmac_f64_e32 v[108:109], -0.5, v[110:111]
	v_add_f64 v[110:111], v[100:101], -v[112:113]
	v_add_f64 v[120:121], v[120:121], v[116:117]
	v_fma_f64 v[116:117], s[2:3], v[110:111], v[108:109]
	v_fmac_f64_e32 v[108:109], s[0:1], v[110:111]
	v_add_f64 v[110:111], v[104:105], v[100:101]
	v_add_f64 v[100:101], v[100:101], v[112:113]
	v_fmac_f64_e32 v[104:105], -0.5, v[100:101]
	v_add_f64 v[100:101], v[106:107], -v[102:103]
	v_mul_f64 v[88:89], v[160:161], v[234:235]
	v_mul_f64 v[94:95], v[210:211], v[222:223]
	v_add_f64 v[128:129], v[110:111], v[112:113]
	v_fma_f64 v[112:113], s[0:1], v[100:101], v[104:105]
	v_fmac_f64_e32 v[104:105], s[2:3], v[100:101]
	v_fmac_f64_e32 v[88:89], v[158:159], v[232:233]
	;; [unrolled: 1-line block ×3, first 2 shown]
	v_add_f64 v[68:69], v[8:9], v[130:131]
	v_add_f64 v[8:9], v[8:9], -v[130:131]
	v_add_f64 v[122:123], v[122:123], v[118:119]
	v_mul_f64 v[118:119], v[112:113], s[2:3]
	v_mul_f64 v[130:131], v[104:105], s[2:3]
	v_mul_f64 v[132:133], v[112:113], 0.5
	v_mul_f64 v[104:105], v[104:105], -0.5
	v_fmac_f64_e32 v[118:119], 0.5, v[116:117]
	v_add_f64 v[102:103], v[122:123], v[128:129]
	v_fmac_f64_e32 v[132:133], s[0:1], v[116:117]
	v_fmac_f64_e32 v[104:105], s[0:1], v[108:109]
	v_add_f64 v[116:117], v[122:123], -v[128:129]
	v_add_f64 v[122:123], v[88:89], v[94:95]
	v_fmac_f64_e32 v[130:131], -0.5, v[108:109]
	v_add_f64 v[108:109], v[6:7], v[104:105]
	v_add_f64 v[6:7], v[6:7], -v[104:105]
	v_add_f64 v[104:105], v[0:1], v[88:89]
	v_fmac_f64_e32 v[0:1], -0.5, v[122:123]
	v_add_f64 v[122:123], v[92:93], -v[98:99]
	v_mul_f64 v[84:85], v[194:195], v[226:227]
	v_add_f64 v[110:111], v[124:125], v[118:119]
	v_add_f64 v[118:119], v[124:125], -v[118:119]
	v_fma_f64 v[124:125], s[2:3], v[122:123], v[0:1]
	v_fmac_f64_e32 v[0:1], s[0:1], v[122:123]
	v_add_f64 v[122:123], v[2:3], v[92:93]
	v_add_f64 v[92:93], v[92:93], v[98:99]
	v_fmac_f64_e32 v[84:85], v[192:193], v[224:225]
	v_fmac_f64_e32 v[2:3], -0.5, v[92:93]
	v_add_f64 v[88:89], v[88:89], -v[94:95]
	v_add_f64 v[122:123], v[122:123], v[98:99]
	v_fma_f64 v[98:99], s[0:1], v[88:89], v[2:3]
	v_fmac_f64_e32 v[2:3], s[2:3], v[88:89]
	v_add_f64 v[88:89], v[80:81], v[84:85]
	v_add_f64 v[100:101], v[120:121], v[114:115]
	;; [unrolled: 1-line block ×3, first 2 shown]
	v_add_f64 v[114:115], v[120:121], -v[114:115]
	v_add_f64 v[120:121], v[126:127], -v[132:133]
	v_add_f64 v[126:127], v[88:89], v[90:91]
	v_add_f64 v[88:89], v[84:85], v[90:91]
	v_fmac_f64_e32 v[80:81], -0.5, v[88:89]
	v_add_f64 v[88:89], v[86:87], -v[96:97]
	v_add_f64 v[104:105], v[104:105], v[94:95]
	v_fma_f64 v[94:95], s[2:3], v[88:89], v[80:81]
	v_fmac_f64_e32 v[80:81], s[0:1], v[88:89]
	v_add_f64 v[88:89], v[82:83], v[86:87]
	v_add_f64 v[86:87], v[86:87], v[96:97]
	v_fmac_f64_e32 v[82:83], -0.5, v[86:87]
	v_add_f64 v[84:85], v[84:85], -v[90:91]
	v_fma_f64 v[90:91], s[0:1], v[84:85], v[82:83]
	v_fmac_f64_e32 v[82:83], s[2:3], v[84:85]
	v_add_f64 v[106:107], v[4:5], v[130:131]
	v_add_f64 v[4:5], v[4:5], -v[130:131]
	v_add_f64 v[128:129], v[88:89], v[96:97]
	v_mul_f64 v[96:97], v[90:91], s[2:3]
	v_mul_f64 v[130:131], v[82:83], s[2:3]
	v_mul_f64 v[132:133], v[90:91], 0.5
	v_mul_f64 v[134:135], v[82:83], -0.5
	v_fmac_f64_e32 v[96:97], 0.5, v[94:95]
	v_fmac_f64_e32 v[130:131], -0.5, v[80:81]
	v_fmac_f64_e32 v[132:133], s[0:1], v[94:95]
	v_fmac_f64_e32 v[134:135], s[0:1], v[80:81]
	v_add_f64 v[84:85], v[104:105], v[126:127]
	v_add_f64 v[88:89], v[124:125], v[96:97]
	;; [unrolled: 1-line block ×6, first 2 shown]
	v_add_f64 v[80:81], v[104:105], -v[126:127]
	v_add_f64 v[96:97], v[124:125], -v[96:97]
	v_add_f64 v[0:1], v[0:1], -v[130:131]
	v_add_f64 v[82:83], v[122:123], -v[128:129]
	v_add_f64 v[98:99], v[98:99], -v[132:133]
	v_add_f64 v[2:3], v[2:3], -v[134:135]
	s_waitcnt lgkmcnt(0)
	; wave barrier
	ds_write_b128 v177, v[20:23]
	ds_write_b128 v177, v[24:27] offset:1280
	ds_write_b128 v177, v[28:31] offset:2560
	ds_write_b128 v177, v[36:39] offset:3840
	ds_write_b128 v177, v[32:35] offset:5120
	ds_write_b128 v177, v[12:15] offset:6400
	ds_write_b128 v186, v[40:43]
	ds_write_b128 v186, v[44:47] offset:1280
	ds_write_b128 v186, v[48:51] offset:2560
	ds_write_b128 v186, v[56:59] offset:3840
	ds_write_b128 v186, v[52:55] offset:5120
	ds_write_b128 v186, v[16:19] offset:6400
	;; [unrolled: 6-line block ×4, first 2 shown]
	ds_write_b128 v177, v[84:87] offset:1024
	ds_write_b128 v177, v[88:91] offset:2304
	;; [unrolled: 1-line block ×6, first 2 shown]
	s_waitcnt lgkmcnt(0)
	; wave barrier
	s_waitcnt lgkmcnt(0)
	ds_read_b128 v[4:7], v171
	s_add_u32 s2, s8, 0x1d60
	s_addc_u32 s3, s9, 0
	v_sub_u32_e32 v18, v184, v175
	v_cmp_ne_u32_e64 s[0:1], 0, v178
                                        ; implicit-def: $vgpr2_vgpr3
                                        ; implicit-def: $vgpr8_vgpr9
	s_and_saveexec_b64 s[8:9], s[0:1]
	s_xor_b64 s[0:1], exec, s[8:9]
	s_cbranch_execz .LBB0_19
; %bb.18:
	v_mov_b32_e32 v179, 0
	v_lshl_add_u64 v[0:1], v[178:179], 4, s[2:3]
	global_load_dwordx4 v[10:13], v[0:1], off
	ds_read_b128 v[0:3], v18 offset:7680
	s_waitcnt lgkmcnt(0)
	v_add_f64 v[14:15], v[4:5], v[0:1]
	v_add_f64 v[0:1], v[4:5], -v[0:1]
	v_add_f64 v[8:9], v[6:7], v[2:3]
	v_add_f64 v[2:3], v[6:7], -v[2:3]
	v_mul_f64 v[6:7], v[0:1], 0.5
	v_mul_f64 v[0:1], v[2:3], 0.5
	;; [unrolled: 1-line block ×3, first 2 shown]
	s_waitcnt vmcnt(0)
	v_mul_f64 v[2:3], v[6:7], v[12:13]
	v_fma_f64 v[16:17], 0.5, v[14:15], v[2:3]
	v_fma_f64 v[8:9], v[4:5], v[12:13], v[0:1]
	v_fma_f64 v[12:13], v[4:5], v[12:13], -v[0:1]
	v_fma_f64 v[0:1], v[14:15], 0.5, -v[2:3]
	v_fmac_f64_e32 v[16:17], v[4:5], v[10:11]
	v_fma_f64 v[8:9], -v[10:11], v[6:7], v[8:9]
	v_fma_f64 v[0:1], -v[4:5], v[10:11], v[0:1]
	ds_write_b64 v171, v[16:17]
	v_fma_f64 v[2:3], -v[10:11], v[6:7], v[12:13]
                                        ; implicit-def: $vgpr4_vgpr5
.LBB0_19:
	s_andn2_saveexec_b64 s[0:1], s[0:1]
	s_cbranch_execz .LBB0_21
; %bb.20:
	ds_read_b64 v[2:3], v184 offset:3848
	s_waitcnt lgkmcnt(1)
	v_add_f64 v[8:9], v[4:5], v[6:7]
	ds_write_b64 v171, v[8:9]
	v_mov_b64_e32 v[8:9], 0
	v_add_f64 v[0:1], v[4:5], -v[6:7]
	s_waitcnt lgkmcnt(1)
	v_xor_b32_e32 v3, 0x80000000, v3
	v_mov_b64_e32 v[178:179], 0
	ds_write_b64 v184, v[2:3] offset:3848
	v_mov_b64_e32 v[2:3], v[8:9]
.LBB0_21:
	s_or_b64 exec, exec, s[0:1]
	v_mov_b32_e32 v175, 0
	s_waitcnt lgkmcnt(0)
	v_lshl_add_u64 v[4:5], v[174:175], 4, s[2:3]
	global_load_dwordx4 v[4:7], v[4:5], off
	v_mov_b32_e32 v181, v175
	v_lshl_add_u64 v[10:11], v[180:181], 4, s[2:3]
	global_load_dwordx4 v[12:15], v[10:11], off
	v_mov_b32_e32 v177, v175
	v_lshl_add_u64 v[10:11], v[176:177], 4, s[2:3]
	global_load_dwordx4 v[20:23], v[10:11], off
	ds_write_b64 v171, v[8:9] offset:8
	ds_write_b128 v18, v[0:3] offset:7680
	v_lshl_add_u64 v[16:17], v[178:179], 4, s[2:3]
	ds_read_b128 v[8:11], v186
	ds_read_b128 v[24:27], v18 offset:7424
	global_load_dwordx4 v[0:3], v[16:17], off offset:1024
	v_lshl_add_u32 v19, v176, 4, v184
	s_waitcnt lgkmcnt(0)
	v_add_f64 v[28:29], v[8:9], v[24:25]
	v_add_f64 v[8:9], v[8:9], -v[24:25]
	v_add_f64 v[30:31], v[10:11], v[26:27]
	v_add_f64 v[10:11], v[10:11], -v[26:27]
	v_mul_f64 v[26:27], v[8:9], 0.5
	v_mul_f64 v[24:25], v[30:31], 0.5
	;; [unrolled: 1-line block ×3, first 2 shown]
	s_waitcnt vmcnt(3)
	v_mul_f64 v[10:11], v[26:27], v[6:7]
	v_fma_f64 v[30:31], v[24:25], v[6:7], v[8:9]
	v_fma_f64 v[32:33], v[24:25], v[6:7], -v[8:9]
	v_fma_f64 v[6:7], 0.5, v[28:29], v[10:11]
	v_fma_f64 v[8:9], -v[4:5], v[26:27], v[30:31]
	v_fma_f64 v[10:11], v[28:29], 0.5, -v[10:11]
	v_fmac_f64_e32 v[6:7], v[24:25], v[4:5]
	v_fma_f64 v[26:27], -v[4:5], v[26:27], v[32:33]
	v_fma_f64 v[24:25], -v[24:25], v[4:5], v[10:11]
	ds_write_b128 v186, v[6:9]
	ds_write_b128 v18, v[24:27] offset:7424
	ds_read_b128 v[4:7], v185
	ds_read_b128 v[24:27], v18 offset:7168
	global_load_dwordx4 v[8:11], v[16:17], off offset:1280
	s_waitcnt lgkmcnt(0)
	v_add_f64 v[28:29], v[4:5], v[24:25]
	v_add_f64 v[4:5], v[4:5], -v[24:25]
	v_add_f64 v[30:31], v[6:7], v[26:27]
	v_add_f64 v[6:7], v[6:7], -v[26:27]
	v_mul_f64 v[26:27], v[4:5], 0.5
	v_mul_f64 v[24:25], v[30:31], 0.5
	;; [unrolled: 1-line block ×3, first 2 shown]
	s_waitcnt vmcnt(3)
	v_mul_f64 v[30:31], v[26:27], v[14:15]
	v_fma_f64 v[6:7], v[24:25], v[14:15], v[4:5]
	v_fma_f64 v[14:15], v[24:25], v[14:15], -v[4:5]
	v_fma_f64 v[4:5], 0.5, v[28:29], v[30:31]
	v_fma_f64 v[6:7], -v[12:13], v[26:27], v[6:7]
	v_fma_f64 v[28:29], v[28:29], 0.5, -v[30:31]
	v_fmac_f64_e32 v[4:5], v[24:25], v[12:13]
	v_fma_f64 v[14:15], -v[12:13], v[26:27], v[14:15]
	v_fma_f64 v[12:13], -v[24:25], v[12:13], v[28:29]
	ds_write_b128 v185, v[4:7]
	ds_write_b128 v18, v[12:15] offset:7168
	ds_read_b128 v[4:7], v19
	ds_read_b128 v[24:27], v18 offset:6912
	global_load_dwordx4 v[12:15], v[16:17], off offset:1536
	s_waitcnt lgkmcnt(0)
	v_add_f64 v[28:29], v[4:5], v[24:25]
	v_add_f64 v[4:5], v[4:5], -v[24:25]
	v_add_f64 v[30:31], v[6:7], v[26:27]
	v_add_f64 v[6:7], v[6:7], -v[26:27]
	v_mul_f64 v[26:27], v[4:5], 0.5
	v_mul_f64 v[24:25], v[30:31], 0.5
	;; [unrolled: 1-line block ×3, first 2 shown]
	s_waitcnt vmcnt(3)
	v_mul_f64 v[30:31], v[26:27], v[22:23]
	v_fma_f64 v[6:7], v[24:25], v[22:23], v[4:5]
	v_fma_f64 v[22:23], v[24:25], v[22:23], -v[4:5]
	v_fma_f64 v[4:5], 0.5, v[28:29], v[30:31]
	v_fma_f64 v[6:7], -v[20:21], v[26:27], v[6:7]
	v_fma_f64 v[28:29], v[28:29], 0.5, -v[30:31]
	v_fmac_f64_e32 v[4:5], v[24:25], v[20:21]
	v_fma_f64 v[22:23], -v[20:21], v[26:27], v[22:23]
	v_fma_f64 v[20:21], -v[24:25], v[20:21], v[28:29]
	ds_write_b128 v19, v[4:7]
	ds_write_b128 v18, v[20:23] offset:6912
	ds_read_b128 v[20:23], v171 offset:1024
	ds_read_b128 v[24:27], v18 offset:6656
	global_load_dwordx4 v[4:7], v[16:17], off offset:1792
	s_waitcnt lgkmcnt(0)
	v_add_f64 v[28:29], v[20:21], v[24:25]
	v_add_f64 v[20:21], v[20:21], -v[24:25]
	v_add_f64 v[30:31], v[22:23], v[26:27]
	v_add_f64 v[22:23], v[22:23], -v[26:27]
	v_mul_f64 v[26:27], v[20:21], 0.5
	v_mul_f64 v[24:25], v[30:31], 0.5
	v_mul_f64 v[20:21], v[22:23], 0.5
	s_waitcnt vmcnt(3)
	v_mul_f64 v[30:31], v[26:27], v[2:3]
	v_fma_f64 v[22:23], v[24:25], v[2:3], v[20:21]
	v_fma_f64 v[2:3], v[24:25], v[2:3], -v[20:21]
	v_fma_f64 v[20:21], 0.5, v[28:29], v[30:31]
	v_fma_f64 v[22:23], -v[0:1], v[26:27], v[22:23]
	v_fma_f64 v[28:29], v[28:29], 0.5, -v[30:31]
	v_fmac_f64_e32 v[20:21], v[24:25], v[0:1]
	v_fma_f64 v[2:3], -v[0:1], v[26:27], v[2:3]
	v_fma_f64 v[0:1], -v[24:25], v[0:1], v[28:29]
	ds_write_b128 v171, v[20:23] offset:1024
	ds_write_b128 v18, v[0:3] offset:6656
	ds_read_b128 v[20:23], v171 offset:1280
	ds_read_b128 v[24:27], v18 offset:6400
	global_load_dwordx4 v[0:3], v[16:17], off offset:2048
	s_waitcnt lgkmcnt(0)
	v_add_f64 v[28:29], v[20:21], v[24:25]
	v_add_f64 v[20:21], v[20:21], -v[24:25]
	v_add_f64 v[30:31], v[22:23], v[26:27]
	v_add_f64 v[22:23], v[22:23], -v[26:27]
	v_mul_f64 v[26:27], v[20:21], 0.5
	v_mul_f64 v[24:25], v[30:31], 0.5
	v_mul_f64 v[20:21], v[22:23], 0.5
	s_waitcnt vmcnt(3)
	v_mul_f64 v[30:31], v[26:27], v[10:11]
	v_fma_f64 v[22:23], v[24:25], v[10:11], v[20:21]
	v_fma_f64 v[10:11], v[24:25], v[10:11], -v[20:21]
	v_fma_f64 v[20:21], 0.5, v[28:29], v[30:31]
	v_fma_f64 v[22:23], -v[8:9], v[26:27], v[22:23]
	v_fma_f64 v[28:29], v[28:29], 0.5, -v[30:31]
	v_fmac_f64_e32 v[20:21], v[24:25], v[8:9]
	v_fma_f64 v[10:11], -v[8:9], v[26:27], v[10:11]
	v_fma_f64 v[8:9], -v[24:25], v[8:9], v[28:29]
	ds_write_b128 v171, v[20:23] offset:1280
	;; [unrolled: 23-line block ×3, first 2 shown]
	ds_write_b128 v18, v[12:15] offset:6144
	ds_read_b128 v[20:23], v171 offset:1792
	ds_read_b128 v[24:27], v18 offset:5888
	global_load_dwordx4 v[12:15], v[16:17], off offset:2560
	s_waitcnt lgkmcnt(0)
	v_add_f64 v[28:29], v[20:21], v[24:25]
	v_add_f64 v[20:21], v[20:21], -v[24:25]
	v_add_f64 v[30:31], v[22:23], v[26:27]
	v_add_f64 v[22:23], v[22:23], -v[26:27]
	v_mul_f64 v[26:27], v[20:21], 0.5
	v_mul_f64 v[24:25], v[30:31], 0.5
	v_mul_f64 v[30:31], v[22:23], 0.5
	s_waitcnt vmcnt(3)
	v_mul_f64 v[32:33], v[26:27], v[6:7]
	v_fma_f64 v[20:21], 0.5, v[28:29], v[32:33]
	v_fma_f64 v[22:23], v[24:25], v[6:7], v[30:31]
	v_fmac_f64_e32 v[20:21], v[24:25], v[4:5]
	v_fma_f64 v[22:23], -v[4:5], v[26:27], v[22:23]
	ds_write_b128 v171, v[20:23] offset:1792
	v_fma_f64 v[20:21], v[28:29], 0.5, -v[32:33]
	v_fma_f64 v[6:7], v[24:25], v[6:7], -v[30:31]
	v_fma_f64 v[20:21], -v[24:25], v[4:5], v[20:21]
	v_fma_f64 v[22:23], -v[4:5], v[26:27], v[6:7]
	ds_write_b128 v18, v[20:23] offset:5888
	ds_read_b128 v[20:23], v171 offset:2048
	ds_read_b128 v[24:27], v18 offset:5632
	global_load_dwordx4 v[4:7], v[16:17], off offset:2816
	s_waitcnt lgkmcnt(0)
	v_add_f64 v[28:29], v[20:21], v[24:25]
	v_add_f64 v[20:21], v[20:21], -v[24:25]
	v_add_f64 v[30:31], v[22:23], v[26:27]
	v_add_f64 v[22:23], v[22:23], -v[26:27]
	v_mul_f64 v[24:25], v[20:21], 0.5
	v_mul_f64 v[30:31], v[30:31], 0.5
	v_mul_f64 v[26:27], v[22:23], 0.5
	s_waitcnt vmcnt(3)
	v_mul_f64 v[32:33], v[24:25], v[2:3]
	v_fma_f64 v[20:21], 0.5, v[28:29], v[32:33]
	v_fma_f64 v[22:23], v[30:31], v[2:3], v[26:27]
	v_fmac_f64_e32 v[20:21], v[30:31], v[0:1]
	v_fma_f64 v[22:23], -v[0:1], v[24:25], v[22:23]
	ds_write_b128 v171, v[20:23] offset:2048
	v_fma_f64 v[20:21], v[28:29], 0.5, -v[32:33]
	v_fma_f64 v[2:3], v[30:31], v[2:3], -v[26:27]
	v_fma_f64 v[20:21], -v[30:31], v[0:1], v[20:21]
	v_fma_f64 v[22:23], -v[0:1], v[24:25], v[2:3]
	;; [unrolled: 23-line block ×5, first 2 shown]
	ds_write_b128 v18, v[0:3] offset:4864
	ds_read_b128 v[0:3], v171 offset:3072
	ds_read_b128 v[4:7], v18 offset:4608
	s_waitcnt lgkmcnt(0)
	v_add_f64 v[8:9], v[0:1], v[4:5]
	v_add_f64 v[0:1], v[0:1], -v[4:5]
	v_add_f64 v[10:11], v[2:3], v[6:7]
	v_add_f64 v[2:3], v[2:3], -v[6:7]
	v_mul_f64 v[4:5], v[0:1], 0.5
	v_mul_f64 v[10:11], v[10:11], 0.5
	v_mul_f64 v[6:7], v[2:3], 0.5
	s_waitcnt vmcnt(2)
	v_mul_f64 v[16:17], v[4:5], v[26:27]
	v_fma_f64 v[0:1], 0.5, v[8:9], v[16:17]
	v_fma_f64 v[2:3], v[10:11], v[26:27], v[6:7]
	v_fmac_f64_e32 v[0:1], v[10:11], v[24:25]
	v_fma_f64 v[2:3], -v[24:25], v[4:5], v[2:3]
	ds_write_b128 v171, v[0:3] offset:3072
	v_fma_f64 v[0:1], v[8:9], 0.5, -v[16:17]
	v_fma_f64 v[2:3], v[10:11], v[26:27], -v[6:7]
	v_fma_f64 v[0:1], -v[10:11], v[24:25], v[0:1]
	v_fma_f64 v[2:3], -v[24:25], v[4:5], v[2:3]
	ds_write_b128 v18, v[0:3] offset:4608
	ds_read_b128 v[0:3], v171 offset:3328
	ds_read_b128 v[4:7], v18 offset:4352
	s_waitcnt lgkmcnt(0)
	v_add_f64 v[8:9], v[0:1], v[4:5]
	v_add_f64 v[0:1], v[0:1], -v[4:5]
	v_add_f64 v[10:11], v[2:3], v[6:7]
	v_add_f64 v[2:3], v[2:3], -v[6:7]
	v_mul_f64 v[4:5], v[0:1], 0.5
	v_mul_f64 v[10:11], v[10:11], 0.5
	v_mul_f64 v[6:7], v[2:3], 0.5
	s_waitcnt vmcnt(1)
	v_mul_f64 v[16:17], v[4:5], v[22:23]
	v_fma_f64 v[0:1], 0.5, v[8:9], v[16:17]
	v_fma_f64 v[2:3], v[10:11], v[22:23], v[6:7]
	v_fmac_f64_e32 v[0:1], v[10:11], v[20:21]
	v_fma_f64 v[2:3], -v[20:21], v[4:5], v[2:3]
	ds_write_b128 v171, v[0:3] offset:3328
	v_fma_f64 v[0:1], v[8:9], 0.5, -v[16:17]
	v_fma_f64 v[2:3], v[10:11], v[22:23], -v[6:7]
	v_fma_f64 v[0:1], -v[10:11], v[20:21], v[0:1]
	v_fma_f64 v[2:3], -v[20:21], v[4:5], v[2:3]
	ds_write_b128 v18, v[0:3] offset:4352
	ds_read_b128 v[0:3], v171 offset:3584
	ds_read_b128 v[4:7], v18 offset:4096
	s_waitcnt lgkmcnt(0)
	v_add_f64 v[8:9], v[0:1], v[4:5]
	v_add_f64 v[0:1], v[0:1], -v[4:5]
	v_add_f64 v[10:11], v[2:3], v[6:7]
	v_add_f64 v[2:3], v[2:3], -v[6:7]
	v_mul_f64 v[4:5], v[0:1], 0.5
	v_mul_f64 v[10:11], v[10:11], 0.5
	v_mul_f64 v[6:7], v[2:3], 0.5
	s_waitcnt vmcnt(0)
	v_mul_f64 v[16:17], v[4:5], v[14:15]
	v_fma_f64 v[0:1], 0.5, v[8:9], v[16:17]
	v_fma_f64 v[2:3], v[10:11], v[14:15], v[6:7]
	v_fmac_f64_e32 v[0:1], v[10:11], v[12:13]
	v_fma_f64 v[2:3], -v[12:13], v[4:5], v[2:3]
	ds_write_b128 v171, v[0:3] offset:3584
	v_fma_f64 v[0:1], v[8:9], 0.5, -v[16:17]
	v_fma_f64 v[2:3], v[10:11], v[14:15], -v[6:7]
	v_fma_f64 v[0:1], -v[10:11], v[12:13], v[0:1]
	v_fma_f64 v[2:3], -v[12:13], v[4:5], v[2:3]
	ds_write_b128 v18, v[0:3] offset:4096
	s_waitcnt lgkmcnt(0)
	; wave barrier
	s_waitcnt lgkmcnt(0)
	s_and_saveexec_b64 s[0:1], vcc
	s_cbranch_execz .LBB0_24
; %bb.22:
	v_mul_lo_u32 v2, s5, v172
	v_mul_lo_u32 v3, s4, v173
	v_mad_u64_u32 v[0:1], s[0:1], s4, v172, 0
	v_add3_u32 v1, v1, v3, v2
	v_lshl_add_u32 v2, v170, 4, v184
	ds_read_b128 v[4:7], v2
	ds_read_b128 v[8:11], v2 offset:256
	v_lshl_add_u64 v[0:1], v[0:1], 4, s[6:7]
	v_mov_b32_e32 v171, v175
	v_lshl_add_u64 v[0:1], v[168:169], 4, v[0:1]
	v_lshl_add_u64 v[12:13], v[170:171], 4, v[0:1]
	v_add_u32_e32 v174, 16, v170
	s_waitcnt lgkmcnt(1)
	global_store_dwordx4 v[12:13], v[4:7], off
	v_lshl_add_u64 v[12:13], v[174:175], 4, v[0:1]
	ds_read_b128 v[4:7], v2 offset:512
	s_waitcnt lgkmcnt(1)
	global_store_dwordx4 v[12:13], v[8:11], off
	ds_read_b128 v[8:11], v2 offset:768
	v_add_u32_e32 v174, 32, v170
	v_lshl_add_u64 v[12:13], v[174:175], 4, v[0:1]
	v_add_u32_e32 v174, 48, v170
	s_waitcnt lgkmcnt(1)
	global_store_dwordx4 v[12:13], v[4:7], off
	v_lshl_add_u64 v[12:13], v[174:175], 4, v[0:1]
	ds_read_b128 v[4:7], v2 offset:1024
	s_waitcnt lgkmcnt(1)
	global_store_dwordx4 v[12:13], v[8:11], off
	ds_read_b128 v[8:11], v2 offset:1280
	v_add_u32_e32 v174, 64, v170
	;; [unrolled: 10-line block ×14, first 2 shown]
	v_lshl_add_u64 v[12:13], v[174:175], 4, v[0:1]
	v_add_u32_e32 v174, 0x1d0, v170
	s_waitcnt lgkmcnt(1)
	global_store_dwordx4 v[12:13], v[4:7], off
	v_cmp_eq_u32_e32 vcc, 15, v170
	s_nop 0
	v_lshl_add_u64 v[4:5], v[174:175], 4, v[0:1]
	s_waitcnt lgkmcnt(0)
	global_store_dwordx4 v[4:5], v[8:11], off
	s_and_b64 exec, exec, vcc
	s_cbranch_execz .LBB0_24
; %bb.23:
	ds_read_b128 v[2:5], v2 offset:7440
	v_add_co_u32_e32 v0, vcc, 0x1000, v0
	s_nop 1
	v_addc_co_u32_e32 v1, vcc, 0, v1, vcc
	s_waitcnt lgkmcnt(0)
	global_store_dwordx4 v[0:1], v[2:5], off offset:3584
.LBB0_24:
	s_endpgm
	.section	.rodata,"a",@progbits
	.p2align	6, 0x0
	.amdhsa_kernel fft_rtc_back_len480_factors_10_8_6_wgs_64_tpt_16_halfLds_dp_op_CI_CI_unitstride_sbrr_R2C_dirReg
		.amdhsa_group_segment_fixed_size 0
		.amdhsa_private_segment_fixed_size 0
		.amdhsa_kernarg_size 104
		.amdhsa_user_sgpr_count 2
		.amdhsa_user_sgpr_dispatch_ptr 0
		.amdhsa_user_sgpr_queue_ptr 0
		.amdhsa_user_sgpr_kernarg_segment_ptr 1
		.amdhsa_user_sgpr_dispatch_id 0
		.amdhsa_user_sgpr_kernarg_preload_length 0
		.amdhsa_user_sgpr_kernarg_preload_offset 0
		.amdhsa_user_sgpr_private_segment_size 0
		.amdhsa_uses_dynamic_stack 0
		.amdhsa_enable_private_segment 0
		.amdhsa_system_sgpr_workgroup_id_x 1
		.amdhsa_system_sgpr_workgroup_id_y 0
		.amdhsa_system_sgpr_workgroup_id_z 0
		.amdhsa_system_sgpr_workgroup_info 0
		.amdhsa_system_vgpr_workitem_id 0
		.amdhsa_next_free_vgpr 252
		.amdhsa_next_free_sgpr 28
		.amdhsa_accum_offset 252
		.amdhsa_reserve_vcc 1
		.amdhsa_float_round_mode_32 0
		.amdhsa_float_round_mode_16_64 0
		.amdhsa_float_denorm_mode_32 3
		.amdhsa_float_denorm_mode_16_64 3
		.amdhsa_dx10_clamp 1
		.amdhsa_ieee_mode 1
		.amdhsa_fp16_overflow 0
		.amdhsa_tg_split 0
		.amdhsa_exception_fp_ieee_invalid_op 0
		.amdhsa_exception_fp_denorm_src 0
		.amdhsa_exception_fp_ieee_div_zero 0
		.amdhsa_exception_fp_ieee_overflow 0
		.amdhsa_exception_fp_ieee_underflow 0
		.amdhsa_exception_fp_ieee_inexact 0
		.amdhsa_exception_int_div_zero 0
	.end_amdhsa_kernel
	.text
.Lfunc_end0:
	.size	fft_rtc_back_len480_factors_10_8_6_wgs_64_tpt_16_halfLds_dp_op_CI_CI_unitstride_sbrr_R2C_dirReg, .Lfunc_end0-fft_rtc_back_len480_factors_10_8_6_wgs_64_tpt_16_halfLds_dp_op_CI_CI_unitstride_sbrr_R2C_dirReg
                                        ; -- End function
	.section	.AMDGPU.csdata,"",@progbits
; Kernel info:
; codeLenInByte = 16636
; NumSgprs: 34
; NumVgprs: 252
; NumAgprs: 0
; TotalNumVgprs: 252
; ScratchSize: 0
; MemoryBound: 0
; FloatMode: 240
; IeeeMode: 1
; LDSByteSize: 0 bytes/workgroup (compile time only)
; SGPRBlocks: 4
; VGPRBlocks: 31
; NumSGPRsForWavesPerEU: 34
; NumVGPRsForWavesPerEU: 252
; AccumOffset: 252
; Occupancy: 2
; WaveLimiterHint : 1
; COMPUTE_PGM_RSRC2:SCRATCH_EN: 0
; COMPUTE_PGM_RSRC2:USER_SGPR: 2
; COMPUTE_PGM_RSRC2:TRAP_HANDLER: 0
; COMPUTE_PGM_RSRC2:TGID_X_EN: 1
; COMPUTE_PGM_RSRC2:TGID_Y_EN: 0
; COMPUTE_PGM_RSRC2:TGID_Z_EN: 0
; COMPUTE_PGM_RSRC2:TIDIG_COMP_CNT: 0
; COMPUTE_PGM_RSRC3_GFX90A:ACCUM_OFFSET: 62
; COMPUTE_PGM_RSRC3_GFX90A:TG_SPLIT: 0
	.text
	.p2alignl 6, 3212836864
	.fill 256, 4, 3212836864
	.type	__hip_cuid_61e8051cabbcdc6b,@object ; @__hip_cuid_61e8051cabbcdc6b
	.section	.bss,"aw",@nobits
	.globl	__hip_cuid_61e8051cabbcdc6b
__hip_cuid_61e8051cabbcdc6b:
	.byte	0                               ; 0x0
	.size	__hip_cuid_61e8051cabbcdc6b, 1

	.ident	"AMD clang version 19.0.0git (https://github.com/RadeonOpenCompute/llvm-project roc-6.4.0 25133 c7fe45cf4b819c5991fe208aaa96edf142730f1d)"
	.section	".note.GNU-stack","",@progbits
	.addrsig
	.addrsig_sym __hip_cuid_61e8051cabbcdc6b
	.amdgpu_metadata
---
amdhsa.kernels:
  - .agpr_count:     0
    .args:
      - .actual_access:  read_only
        .address_space:  global
        .offset:         0
        .size:           8
        .value_kind:     global_buffer
      - .offset:         8
        .size:           8
        .value_kind:     by_value
      - .actual_access:  read_only
        .address_space:  global
        .offset:         16
        .size:           8
        .value_kind:     global_buffer
      - .actual_access:  read_only
        .address_space:  global
        .offset:         24
        .size:           8
        .value_kind:     global_buffer
      - .actual_access:  read_only
        .address_space:  global
        .offset:         32
        .size:           8
        .value_kind:     global_buffer
      - .offset:         40
        .size:           8
        .value_kind:     by_value
      - .actual_access:  read_only
        .address_space:  global
        .offset:         48
        .size:           8
        .value_kind:     global_buffer
      - .actual_access:  read_only
        .address_space:  global
        .offset:         56
        .size:           8
        .value_kind:     global_buffer
      - .offset:         64
        .size:           4
        .value_kind:     by_value
      - .actual_access:  read_only
        .address_space:  global
        .offset:         72
        .size:           8
        .value_kind:     global_buffer
      - .actual_access:  read_only
        .address_space:  global
        .offset:         80
        .size:           8
        .value_kind:     global_buffer
      - .actual_access:  read_only
        .address_space:  global
        .offset:         88
        .size:           8
        .value_kind:     global_buffer
      - .actual_access:  write_only
        .address_space:  global
        .offset:         96
        .size:           8
        .value_kind:     global_buffer
    .group_segment_fixed_size: 0
    .kernarg_segment_align: 8
    .kernarg_segment_size: 104
    .language:       OpenCL C
    .language_version:
      - 2
      - 0
    .max_flat_workgroup_size: 64
    .name:           fft_rtc_back_len480_factors_10_8_6_wgs_64_tpt_16_halfLds_dp_op_CI_CI_unitstride_sbrr_R2C_dirReg
    .private_segment_fixed_size: 0
    .sgpr_count:     34
    .sgpr_spill_count: 0
    .symbol:         fft_rtc_back_len480_factors_10_8_6_wgs_64_tpt_16_halfLds_dp_op_CI_CI_unitstride_sbrr_R2C_dirReg.kd
    .uniform_work_group_size: 1
    .uses_dynamic_stack: false
    .vgpr_count:     252
    .vgpr_spill_count: 0
    .wavefront_size: 64
amdhsa.target:   amdgcn-amd-amdhsa--gfx950
amdhsa.version:
  - 1
  - 2
...

	.end_amdgpu_metadata
